;; amdgpu-corpus repo=ROCm/rocFFT kind=compiled arch=gfx906 opt=O3
	.text
	.amdgcn_target "amdgcn-amd-amdhsa--gfx906"
	.amdhsa_code_object_version 6
	.protected	bluestein_single_fwd_len924_dim1_sp_op_CI_CI ; -- Begin function bluestein_single_fwd_len924_dim1_sp_op_CI_CI
	.globl	bluestein_single_fwd_len924_dim1_sp_op_CI_CI
	.p2align	8
	.type	bluestein_single_fwd_len924_dim1_sp_op_CI_CI,@function
bluestein_single_fwd_len924_dim1_sp_op_CI_CI: ; @bluestein_single_fwd_len924_dim1_sp_op_CI_CI
; %bb.0:
	s_load_dwordx4 s[12:15], s[4:5], 0x28
	s_mov_b64 s[22:23], s[2:3]
	v_mul_u32_u24_e32 v1, 0x5d2, v0
	s_mov_b64 s[20:21], s[0:1]
	v_add_u32_sdwa v197, s6, v1 dst_sel:DWORD dst_unused:UNUSED_PAD src0_sel:DWORD src1_sel:WORD_1
	v_mov_b32_e32 v198, 0
	s_add_u32 s20, s20, s7
	s_waitcnt lgkmcnt(0)
	v_cmp_gt_u64_e32 vcc, s[12:13], v[197:198]
	s_addc_u32 s21, s21, 0
	s_and_saveexec_b64 s[0:1], vcc
	s_cbranch_execz .LBB0_31
; %bb.1:
	s_load_dwordx4 s[0:3], s[4:5], 0x18
	s_load_dwordx2 s[16:17], s[4:5], 0x0
	v_mov_b32_e32 v2, 44
	v_mul_lo_u16_sdwa v1, v1, v2 dst_sel:DWORD dst_unused:UNUSED_PAD src0_sel:WORD_1 src1_sel:DWORD
	v_sub_u16_e32 v170, v0, v1
	s_waitcnt lgkmcnt(0)
	s_load_dwordx4 s[8:11], s[0:1], 0x0
	v_lshlrev_b32_e32 v169, 3, v170
	global_load_dwordx2 v[152:153], v169, s[16:17]
	v_mov_b32_e32 v8, s17
	v_add_co_u32_e64 v124, s[6:7], s16, v169
	s_waitcnt lgkmcnt(0)
	v_mad_u64_u32 v[0:1], s[0:1], s10, v197, 0
	v_mad_u64_u32 v[2:3], s[0:1], s8, v170, 0
	s_load_dwordx2 s[12:13], s[4:5], 0x38
	v_mad_u64_u32 v[4:5], s[0:1], s11, v197, v[1:2]
	v_mad_u64_u32 v[5:6], s[0:1], s9, v170, v[3:4]
	v_mov_b32_e32 v1, v4
	v_lshlrev_b64 v[0:1], 3, v[0:1]
	v_mov_b32_e32 v6, s15
	v_mov_b32_e32 v3, v5
	v_add_co_u32_e32 v4, vcc, s14, v0
	v_addc_co_u32_e32 v5, vcc, v6, v1, vcc
	v_lshlrev_b64 v[0:1], 3, v[2:3]
	s_mul_i32 s0, s9, 0x1ce
	s_mul_hi_u32 s1, s8, 0x1ce
	v_add_co_u32_e32 v0, vcc, v4, v0
	s_add_i32 s1, s1, s0
	s_mul_i32 s0, s8, 0x1ce
	v_addc_co_u32_e32 v1, vcc, v5, v1, vcc
	s_lshl_b64 s[14:15], s[0:1], 3
	v_mov_b32_e32 v42, s15
	v_add_co_u32_e32 v2, vcc, s14, v0
	v_addc_co_u32_e32 v3, vcc, v1, v42, vcc
	global_load_dwordx2 v[4:5], v[0:1], off
	global_load_dwordx2 v[6:7], v[2:3], off
	global_load_dwordx2 v[146:147], v169, s[16:17] offset:3696
	s_mul_hi_u32 s1, s8, 0xfffffe5e
	s_mul_i32 s0, s9, 0xfffffe5e
	s_sub_i32 s1, s1, s8
	s_add_i32 s1, s1, s0
	s_mul_i32 s0, s8, 0xfffffe5e
	s_lshl_b64 s[18:19], s[0:1], 3
	v_mov_b32_e32 v40, s19
	v_add_co_u32_e32 v0, vcc, s18, v2
	v_addc_co_u32_e32 v1, vcc, v3, v40, vcc
	s_movk_i32 s0, 0x1000
	v_addc_co_u32_e64 v125, vcc, 0, v8, s[6:7]
	v_add_co_u32_e32 v8, vcc, s0, v124
	v_addc_co_u32_e32 v9, vcc, 0, v125, vcc
	global_load_dwordx2 v[144:145], v169, s[16:17] offset:352
	global_load_dwordx2 v[2:3], v[0:1], off
	v_add_co_u32_e32 v0, vcc, s14, v0
	v_addc_co_u32_e32 v1, vcc, v1, v42, vcc
	s_load_dwordx4 s[8:11], s[2:3], 0x0
	global_load_dwordx2 v[148:149], v169, s[16:17] offset:4048
	global_load_dwordx2 v[140:141], v169, s[16:17] offset:704
	;; [unrolled: 1-line block ×5, first 2 shown]
	global_load_dwordx2 v[10:11], v[0:1], off
	v_add_co_u32_e32 v0, vcc, s18, v0
	v_addc_co_u32_e32 v1, vcc, v1, v40, vcc
	global_load_dwordx2 v[12:13], v[0:1], off
	v_add_co_u32_e32 v0, vcc, s14, v0
	v_addc_co_u32_e32 v1, vcc, v1, v42, vcc
	;; [unrolled: 3-line block ×4, first 2 shown]
	global_load_dwordx2 v[164:165], v[8:9], off offset:304
	v_cmp_gt_u16_e64 s[0:1], 22, v170
	s_waitcnt vmcnt(14)
	v_mul_f32_e32 v18, v5, v153
	v_mul_f32_e32 v19, v4, v153
	v_fmac_f32_e32 v18, v4, v152
	v_fma_f32 v19, v5, v152, -v19
	s_waitcnt vmcnt(12)
	v_mul_f32_e32 v4, v7, v147
	v_mul_f32_e32 v5, v6, v147
	v_fmac_f32_e32 v4, v6, v146
	v_fma_f32 v5, v7, v146, -v5
	ds_write_b64 v169, v[4:5] offset:3696
	global_load_dwordx2 v[4:5], v[0:1], off
	v_add_co_u32_e32 v0, vcc, s18, v0
	v_addc_co_u32_e32 v1, vcc, v1, v40, vcc
	global_load_dwordx2 v[20:21], v[0:1], off
	v_add_co_u32_e32 v0, vcc, s14, v0
	v_addc_co_u32_e32 v1, vcc, v1, v42, vcc
	global_load_dwordx2 v[22:23], v[0:1], off
	global_load_dwordx2 v[162:163], v[8:9], off offset:656
	global_load_dwordx2 v[158:159], v[8:9], off offset:1008
	v_add_co_u32_e32 v0, vcc, s18, v0
	v_addc_co_u32_e32 v1, vcc, v1, v40, vcc
	global_load_dwordx2 v[24:25], v[0:1], off
	global_load_dwordx2 v[160:161], v169, s[16:17] offset:1408
	global_load_dwordx2 v[156:157], v169, s[16:17] offset:1760
	v_add_co_u32_e32 v0, vcc, s14, v0
	v_addc_co_u32_e32 v1, vcc, v1, v42, vcc
	global_load_dwordx2 v[26:27], v[0:1], off
	global_load_dwordx2 v[154:155], v[8:9], off offset:1360
	v_add_co_u32_e32 v0, vcc, s18, v0
	v_addc_co_u32_e32 v1, vcc, v1, v40, vcc
	global_load_dwordx2 v[28:29], v[0:1], off
	global_load_dwordx2 v[150:151], v169, s[16:17] offset:2112
	v_add_co_u32_e32 v0, vcc, s14, v0
	v_addc_co_u32_e32 v1, vcc, v1, v42, vcc
	global_load_dwordx2 v[30:31], v[0:1], off
	global_load_dwordx2 v[142:143], v[8:9], off offset:1712
	v_add_co_u32_e32 v0, vcc, s18, v0
	v_addc_co_u32_e32 v1, vcc, v1, v40, vcc
	global_load_dwordx2 v[32:33], v[0:1], off
	;; [unrolled: 8-line block ×3, first 2 shown]
	v_add_co_u32_e32 v0, vcc, s14, v0
	v_addc_co_u32_e32 v1, vcc, v1, v42, vcc
	global_load_dwordx2 v[38:39], v[0:1], off
	global_load_dwordx2 v[132:133], v[8:9], off offset:2416
	v_add_co_u32_e32 v0, vcc, s18, v0
	v_addc_co_u32_e32 v1, vcc, v1, v40, vcc
	global_load_dwordx2 v[40:41], v[0:1], off
	v_add_co_u32_e32 v0, vcc, s14, v0
	v_addc_co_u32_e32 v1, vcc, v1, v42, vcc
	global_load_dwordx2 v[42:43], v[0:1], off
	global_load_dwordx2 v[130:131], v[8:9], off offset:2768
	s_waitcnt vmcnt(34)
	v_mul_f32_e32 v6, v3, v145
	v_fmac_f32_e32 v6, v2, v144
	v_mul_f32_e32 v2, v2, v145
	v_fma_f32 v7, v3, v144, -v2
	s_waitcnt vmcnt(28)
	v_mul_f32_e32 v2, v11, v149
	v_mul_f32_e32 v3, v10, v149
	s_waitcnt vmcnt(24)
	v_mul_f32_e32 v8, v15, v165
	v_mul_f32_e32 v9, v14, v165
	v_fmac_f32_e32 v2, v10, v148
	v_fma_f32 v3, v11, v148, -v3
	v_fmac_f32_e32 v8, v14, v164
	v_fma_f32 v9, v15, v164, -v9
	v_add_u32_e32 v10, 0xc00, v169
	ds_write2_b64 v169, v[18:19], v[6:7] offset1:44
	v_mul_f32_e32 v6, v13, v141
	v_mul_f32_e32 v7, v12, v141
	ds_write2_b64 v10, v[2:3], v[8:9] offset0:122 offset1:166
	v_mul_f32_e32 v2, v17, v135
	v_mul_f32_e32 v3, v16, v135
	v_fmac_f32_e32 v6, v12, v140
	v_fma_f32 v7, v13, v140, -v7
	v_fmac_f32_e32 v2, v16, v134
	v_fma_f32 v3, v17, v134, -v3
	ds_write2_b64 v169, v[6:7], v[2:3] offset0:88 offset1:132
	v_add_u32_e32 v16, 0x1800, v169
	s_waitcnt vmcnt(20)
	v_mul_f32_e32 v3, v5, v163
	v_mul_f32_e32 v2, v4, v163
	v_fmac_f32_e32 v3, v4, v162
	v_fma_f32 v4, v5, v162, -v2
	s_waitcnt vmcnt(19)
	v_mul_f32_e32 v7, v23, v159
	s_waitcnt vmcnt(17)
	v_mul_f32_e32 v2, v20, v161
	v_fma_f32 v6, v21, v160, -v2
	v_mul_f32_e32 v2, v22, v159
	v_fmac_f32_e32 v7, v22, v158
	v_fma_f32 v8, v23, v158, -v2
	v_add_u32_e32 v2, 0x1000, v169
	v_mul_f32_e32 v5, v21, v161
	ds_write2_b64 v2, v[3:4], v[7:8] offset0:82 offset1:126
	s_waitcnt vmcnt(16)
	v_mul_f32_e32 v3, v25, v157
	v_mul_f32_e32 v4, v24, v157
	v_fmac_f32_e32 v5, v20, v160
	v_fmac_f32_e32 v3, v24, v156
	v_fma_f32 v4, v25, v156, -v4
	ds_write2_b64 v169, v[5:6], v[3:4] offset0:176 offset1:220
	s_waitcnt vmcnt(14)
	v_mul_f32_e32 v3, v27, v155
	v_mul_f32_e32 v4, v26, v155
	s_waitcnt vmcnt(10)
	v_mul_f32_e32 v7, v31, v143
	v_mul_f32_e32 v8, v30, v143
	v_fmac_f32_e32 v3, v26, v154
	v_fma_f32 v4, v27, v154, -v4
	v_fmac_f32_e32 v7, v30, v142
	v_fma_f32 v8, v31, v142, -v8
	v_mul_f32_e32 v5, v29, v151
	v_mul_f32_e32 v6, v28, v151
	ds_write2_b64 v2, v[3:4], v[7:8] offset0:170 offset1:214
	s_waitcnt vmcnt(8)
	v_mul_f32_e32 v7, v33, v139
	v_mul_f32_e32 v3, v32, v139
	v_fmac_f32_e32 v5, v28, v150
	v_fma_f32 v6, v29, v150, -v6
	v_fmac_f32_e32 v7, v32, v138
	v_fma_f32 v8, v33, v138, -v3
	v_add_u32_e32 v3, 0x800, v169
	ds_write2_b64 v3, v[5:6], v[7:8] offset0:8 offset1:52
	s_waitcnt vmcnt(6)
	v_mul_f32_e32 v4, v35, v137
	v_mul_f32_e32 v5, v34, v137
	v_fmac_f32_e32 v4, v34, v136
	s_waitcnt vmcnt(3)
	v_mul_f32_e32 v8, v39, v133
	v_mul_f32_e32 v9, v38, v133
	v_fma_f32 v5, v35, v136, -v5
	v_fmac_f32_e32 v8, v38, v132
	v_fma_f32 v9, v39, v132, -v9
	v_mul_f32_e32 v6, v37, v129
	v_mul_f32_e32 v7, v36, v129
	ds_write2_b64 v16, v[4:5], v[8:9] offset0:2 offset1:46
	s_waitcnt vmcnt(2)
	v_mul_f32_e32 v4, v41, v127
	v_mul_f32_e32 v5, v40, v127
	v_fmac_f32_e32 v6, v36, v128
	v_fma_f32 v7, v37, v128, -v7
	v_fmac_f32_e32 v4, v40, v126
	v_fma_f32 v5, v41, v126, -v5
	ds_write2_b64 v3, v[6:7], v[4:5] offset0:96 offset1:140
	s_waitcnt vmcnt(0)
	v_mul_f32_e32 v4, v43, v131
	v_mul_f32_e32 v5, v42, v131
	v_fmac_f32_e32 v4, v42, v130
	v_fma_f32 v5, v43, v130, -v5
	ds_write_b64 v169, v[4:5] offset:6864
	s_and_saveexec_b64 s[2:3], s[0:1]
	s_cbranch_execz .LBB0_3
; %bb.2:
	v_mov_b32_e32 v4, s19
	v_add_co_u32_e32 v0, vcc, s18, v0
	v_addc_co_u32_e32 v1, vcc, v1, v4, vcc
	global_load_dwordx2 v[4:5], v[0:1], off
	global_load_dwordx2 v[6:7], v[124:125], off offset:3520
	v_mov_b32_e32 v8, s15
	v_add_co_u32_e32 v0, vcc, s14, v0
	v_addc_co_u32_e32 v1, vcc, v1, v8, vcc
	v_add_co_u32_e32 v8, vcc, 0x1000, v124
	v_addc_co_u32_e32 v9, vcc, 0, v125, vcc
	global_load_dwordx2 v[10:11], v[8:9], off offset:3120
	global_load_dwordx2 v[12:13], v[0:1], off
	s_waitcnt vmcnt(2)
	v_mul_f32_e32 v0, v5, v7
	v_mul_f32_e32 v1, v4, v7
	v_fmac_f32_e32 v0, v4, v6
	v_fma_f32 v1, v5, v6, -v1
	ds_write_b64 v169, v[0:1] offset:3520
	s_waitcnt vmcnt(0)
	v_mul_f32_e32 v4, v13, v11
	v_mul_f32_e32 v5, v12, v11
	v_fmac_f32_e32 v4, v12, v10
	v_fma_f32 v5, v13, v10, -v5
	ds_write_b64 v169, v[4:5] offset:7216
.LBB0_3:
	s_or_b64 exec, exec, s[2:3]
	s_waitcnt lgkmcnt(0)
	; wave barrier
	s_waitcnt lgkmcnt(0)
	ds_read2_b64 v[20:23], v169 offset1:44
	ds_read2_b64 v[36:39], v3 offset0:206 offset1:250
	ds_read2_b64 v[12:15], v169 offset0:88 offset1:132
	;; [unrolled: 1-line block ×6, first 2 shown]
	v_add_u32_e32 v0, 0x1400, v169
	ds_read2_b64 v[24:27], v0 offset0:86 offset1:130
	ds_read2_b64 v[0:3], v3 offset0:96 offset1:140
	;; [unrolled: 1-line block ×3, first 2 shown]
                                        ; implicit-def: $vgpr42
                                        ; implicit-def: $vgpr40
	s_and_saveexec_b64 s[2:3], s[0:1]
	s_cbranch_execz .LBB0_5
; %bb.4:
	ds_read_b64 v[40:41], v169 offset:3520
	ds_read_b64 v[42:43], v169 offset:7216
.LBB0_5:
	s_or_b64 exec, exec, s[2:3]
	s_movk_i32 s2, 0xb0
	s_load_dwordx2 s[4:5], s[4:5], 0x8
	v_add_co_u32_e32 v46, vcc, s2, v170
	s_movk_i32 s2, 0xdc
	s_waitcnt lgkmcnt(0)
	v_sub_f32_e32 v38, v22, v38
	v_sub_f32_e32 v39, v23, v39
	v_add_co_u32_e32 v60, vcc, 44, v170
	v_add_co_u32_e32 v48, vcc, 0x58, v170
	;; [unrolled: 1-line block ×3, first 2 shown]
	s_movk_i32 s2, 0x108
	v_sub_f32_e32 v53, v20, v36
	v_sub_f32_e32 v54, v21, v37
	v_fma_f32 v36, v22, 2.0, -v38
	v_fma_f32 v37, v23, 2.0, -v39
	v_sub_f32_e32 v22, v12, v32
	v_sub_f32_e32 v23, v13, v33
	;; [unrolled: 1-line block ×6, first 2 shown]
	v_add_co_u32_e32 v47, vcc, 0x84, v170
	v_add_co_u32_e32 v44, vcc, s2, v170
	s_movk_i32 s2, 0x1b8
	v_fma_f32 v51, v20, 2.0, -v53
	v_fma_f32 v52, v21, 2.0, -v54
	;; [unrolled: 1-line block ×6, first 2 shown]
	v_sub_f32_e32 v14, v8, v28
	v_sub_f32_e32 v15, v9, v29
	v_fma_f32 v28, v10, 2.0, -v30
	v_fma_f32 v29, v11, 2.0, -v31
	v_sub_f32_e32 v10, v4, v24
	v_sub_f32_e32 v11, v5, v25
	;; [unrolled: 1-line block ×6, first 2 shown]
	v_lshlrev_b32_e32 v180, 4, v170
	v_lshlrev_b32_e32 v181, 4, v60
	;; [unrolled: 1-line block ×4, first 2 shown]
	v_add_co_u32_e32 v49, vcc, s2, v170
	v_fma_f32 v12, v8, 2.0, -v14
	v_fma_f32 v13, v9, 2.0, -v15
	;; [unrolled: 1-line block ×6, first 2 shown]
	v_sub_f32_e32 v6, v0, v16
	v_sub_f32_e32 v7, v1, v17
	v_fma_f32 v16, v2, 2.0, -v18
	v_fma_f32 v17, v3, 2.0, -v19
	v_sub_f32_e32 v2, v40, v42
	v_sub_f32_e32 v3, v41, v43
	s_waitcnt lgkmcnt(0)
	; wave barrier
	ds_write_b128 v180, v[51:54]
	ds_write_b128 v181, v[36:39]
	;; [unrolled: 1-line block ×3, first 2 shown]
	v_lshlrev_b32_e32 v20, 4, v47
	v_lshlrev_b32_e32 v184, 4, v46
	;; [unrolled: 1-line block ×4, first 2 shown]
	v_fma_f32 v4, v0, 2.0, -v6
	v_fma_f32 v5, v1, 2.0, -v7
	;; [unrolled: 1-line block ×4, first 2 shown]
	v_lshlrev_b32_e32 v56, 1, v60
	v_lshlrev_b32_e32 v53, 1, v48
	;; [unrolled: 1-line block ×3, first 2 shown]
	ds_write_b128 v20, v[32:35]
	v_lshlrev_b32_e32 v55, 1, v46
	ds_write_b128 v184, v[12:15]
	v_lshlrev_b32_e32 v52, 1, v45
	;; [unrolled: 2-line block ×3, first 2 shown]
	ds_write_b128 v187, v[8:11]
	v_add_u32_e32 v191, 0x268, v50
	v_lshlrev_b32_e32 v8, 3, v50
	v_add_u32_e32 v192, 0x2c0, v50
	v_add_u32_e32 v195, 0x318, v50
	v_lshlrev_b32_e32 v186, 4, v49
	buffer_store_dword v20, off, s[20:23], 0 offset:20 ; 4-byte Folded Spill
	ds_write_b128 v8, v[24:27] offset:4928
	ds_write_b128 v8, v[4:7] offset:5632
	;; [unrolled: 1-line block ×3, first 2 shown]
	s_and_saveexec_b64 s[2:3], s[0:1]
	s_cbranch_execz .LBB0_7
; %bb.6:
	ds_write_b128 v186, v[0:3]
.LBB0_7:
	s_or_b64 exec, exec, s[2:3]
	v_add_u32_e32 v4, 0x800, v169
	v_add_u32_e32 v5, 0x1000, v169
	s_waitcnt lgkmcnt(0)
	; wave barrier
	s_waitcnt lgkmcnt(0)
	ds_read2_b64 v[20:23], v169 offset1:44
	ds_read2_b64 v[40:43], v4 offset0:206 offset1:250
	ds_read2_b64 v[16:19], v169 offset0:88 offset1:132
	;; [unrolled: 1-line block ×6, first 2 shown]
	v_add_u32_e32 v5, 0x1400, v169
	v_add_u32_e32 v24, 0x1800, v169
	ds_read2_b64 v[28:31], v5 offset0:86 offset1:130
	ds_read2_b64 v[4:7], v4 offset0:96 offset1:140
	;; [unrolled: 1-line block ×3, first 2 shown]
	s_and_saveexec_b64 s[2:3], s[0:1]
	s_cbranch_execz .LBB0_9
; %bb.8:
	ds_read_b64 v[0:1], v169 offset:3520
	ds_read_b64 v[2:3], v169 offset:7216
.LBB0_9:
	s_or_b64 exec, exec, s[2:3]
	v_and_b32_e32 v171, 1, v170
	v_lshlrev_b32_e32 v57, 3, v171
	global_load_dwordx2 v[167:168], v57, s[4:5]
	s_movk_i32 s2, 0x7c
	s_waitcnt lgkmcnt(0)
	; wave barrier
	s_waitcnt lgkmcnt(0)
	s_movk_i32 s14, 0x3fc
	v_lshlrev_b32_e32 v198, 1, v49
	s_waitcnt vmcnt(0)
	v_mul_f32_e32 v57, v41, v168
	v_fma_f32 v57, v40, v167, -v57
	v_mul_f32_e32 v40, v40, v168
	v_fmac_f32_e32 v40, v41, v167
	v_mul_f32_e32 v41, v43, v168
	v_fma_f32 v41, v42, v167, -v41
	v_mul_f32_e32 v42, v42, v168
	v_fmac_f32_e32 v42, v43, v167
	;; [unrolled: 4-line block ×6, first 2 shown]
	v_mul_f32_e32 v35, v29, v168
	v_fma_f32 v35, v28, v167, -v35
	v_mul_f32_e32 v58, v28, v168
	v_mul_f32_e32 v28, v31, v168
	v_fma_f32 v59, v30, v167, -v28
	v_mul_f32_e32 v28, v25, v168
	v_fma_f32 v62, v24, v167, -v28
	v_mul_f32_e32 v63, v24, v168
	v_mul_f32_e32 v24, v27, v168
	v_fma_f32 v64, v26, v167, -v24
	v_mul_f32_e32 v24, v3, v168
	v_mul_f32_e32 v67, v2, v168
	v_fmac_f32_e32 v63, v25, v167
	v_fma_f32 v66, v2, v167, -v24
	v_fmac_f32_e32 v67, v3, v167
	v_sub_f32_e32 v2, v20, v57
	v_sub_f32_e32 v3, v21, v40
	;; [unrolled: 1-line block ×3, first 2 shown]
	v_and_or_b32 v42, v50, s2, v171
	v_fma_f32 v20, v20, 2.0, -v2
	v_fma_f32 v21, v21, 2.0, -v3
	v_lshlrev_b32_e32 v188, 3, v42
	s_movk_i32 s2, 0xfc
	v_mul_f32_e32 v65, v26, v168
	ds_write2_b64 v188, v[20:21], v[2:3] offset1:2
	v_and_or_b32 v2, v56, s2, v171
	s_movk_i32 s2, 0x1fc
	v_fmac_f32_e32 v65, v27, v167
	v_sub_f32_e32 v24, v22, v41
	v_sub_f32_e32 v26, v16, v43
	;; [unrolled: 1-line block ×3, first 2 shown]
	v_lshlrev_b32_e32 v166, 3, v2
	v_and_or_b32 v2, v53, s2, v171
	v_fma_f32 v22, v22, 2.0, -v24
	v_fma_f32 v23, v23, 2.0, -v25
	;; [unrolled: 1-line block ×4, first 2 shown]
	v_lshlrev_b32_e32 v2, 3, v2
	ds_write2_b64 v166, v[22:23], v[24:25] offset1:2
	buffer_store_dword v2, off, s[20:23], 0 offset:24 ; 4-byte Folded Spill
	ds_write2_b64 v2, v[16:17], v[26:27] offset1:2
	v_and_or_b32 v2, v54, s2, v171
	v_lshlrev_b32_e32 v193, 3, v2
	v_and_or_b32 v2, v55, s2, v171
	v_lshlrev_b32_e32 v194, 3, v2
	v_and_or_b32 v2, v52, s14, v171
	s_movk_i32 s2, 0x2fc
	v_lshlrev_b32_e32 v200, 3, v2
	v_and_or_b32 v2, v51, s2, v171
	v_mul_f32_e32 v61, v30, v168
	v_lshlrev_b32_e32 v196, 3, v2
	v_and_or_b32 v2, v191, s2, v171
	v_fmac_f32_e32 v58, v29, v167
	v_fmac_f32_e32 v61, v31, v167
	v_lshlrev_b32_e32 v190, 3, v2
	v_and_or_b32 v2, v192, s14, v171
	v_sub_f32_e32 v28, v18, v37
	v_sub_f32_e32 v29, v19, v38
	;; [unrolled: 1-line block ×14, first 2 shown]
	v_lshlrev_b32_e32 v199, 3, v2
	v_and_or_b32 v2, v195, s14, v171
	v_fma_f32 v18, v18, 2.0, -v28
	v_fma_f32 v19, v19, 2.0, -v29
	v_fma_f32 v12, v12, 2.0, -v30
	v_fma_f32 v13, v13, 2.0, -v31
	v_fma_f32 v14, v14, 2.0, -v32
	v_fma_f32 v15, v15, 2.0, -v33
	v_fma_f32 v8, v8, 2.0, -v34
	v_fma_f32 v9, v9, 2.0, -v35
	v_fma_f32 v10, v10, 2.0, -v36
	v_fma_f32 v11, v11, 2.0, -v37
	v_fma_f32 v4, v4, 2.0, -v38
	v_fma_f32 v5, v5, 2.0, -v39
	v_fma_f32 v6, v6, 2.0, -v40
	v_fma_f32 v7, v7, 2.0, -v41
	v_sub_f32_e32 v120, v0, v66
	v_sub_f32_e32 v121, v1, v67
	v_lshlrev_b32_e32 v201, 3, v2
	ds_write2_b64 v193, v[18:19], v[28:29] offset1:2
	ds_write2_b64 v194, v[12:13], v[30:31] offset1:2
	;; [unrolled: 1-line block ×7, first 2 shown]
	s_and_saveexec_b64 s[2:3], s[0:1]
	s_cbranch_execz .LBB0_11
; %bb.10:
	v_and_or_b32 v2, v198, s14, v171
	v_fma_f32 v1, v1, 2.0, -v121
	v_fma_f32 v0, v0, 2.0, -v120
	v_lshlrev_b32_e32 v2, 3, v2
	ds_write2_b64 v2, v[0:1], v[120:121] offset1:2
.LBB0_11:
	s_or_b64 exec, exec, s[2:3]
	v_and_b32_e32 v51, 3, v170
	v_lshlrev_b32_e32 v0, 4, v51
	s_waitcnt lgkmcnt(0)
	; wave barrier
	s_waitcnt lgkmcnt(0)
	global_load_dwordx4 v[20:23], v0, s[4:5] offset:16
	ds_read2_b64 v[0:3], v169 offset1:44
	v_add_u32_e32 v205, 0x800, v169
	v_add_u32_e32 v204, 0x1000, v169
	ds_read2_b64 v[4:7], v169 offset0:88 offset1:132
	ds_read2_b64 v[8:11], v169 offset0:176 offset1:220
	v_add_u32_e32 v65, 0x1800, v169
	ds_read_b64 v[49:50], v169 offset:7040
	ds_read2_b64 v[12:15], v205 offset0:8 offset1:52
	ds_read2_b64 v[16:19], v204 offset0:104 offset1:148
	;; [unrolled: 1-line block ×7, first 2 shown]
	s_waitcnt lgkmcnt(0)
	; wave barrier
	s_waitcnt lgkmcnt(0)
	s_movk_i32 s14, 0xab
	s_mov_b32 s15, 0xbeae86e6
	v_add_u32_e32 v172, 0xc00, v169
	s_waitcnt vmcnt(0)
	v_mul_f32_e32 v52, v15, v21
	v_mul_f32_e32 v53, v14, v21
	;; [unrolled: 1-line block ×4, first 2 shown]
	v_fma_f32 v14, v14, v20, -v52
	v_fmac_f32_e32 v53, v15, v20
	v_fma_f32 v15, v16, v22, -v54
	v_mul_f32_e32 v56, v25, v21
	v_mul_f32_e32 v57, v24, v21
	;; [unrolled: 1-line block ×4, first 2 shown]
	v_fmac_f32_e32 v55, v17, v22
	v_add_f32_e32 v17, v14, v15
	v_mul_f32_e32 v61, v27, v21
	v_fma_f32 v52, v24, v20, -v56
	v_fmac_f32_e32 v57, v25, v20
	v_fma_f32 v25, v18, v22, -v58
	v_fmac_f32_e32 v59, v19, v22
	v_add_f32_e32 v16, v0, v14
	v_add_f32_e32 v19, v1, v53
	;; [unrolled: 1-line block ×3, first 2 shown]
	v_fma_f32 v0, -0.5, v17, v0
	v_mul_f32_e32 v62, v26, v21
	v_fma_f32 v54, v26, v20, -v61
	v_sub_f32_e32 v18, v53, v55
	v_sub_f32_e32 v26, v14, v15
	v_add_f32_e32 v14, v16, v15
	v_add_f32_e32 v15, v19, v55
	v_fma_f32 v1, -0.5, v24, v1
	v_mov_b32_e32 v16, v0
	v_add_f32_e32 v19, v52, v25
	v_fmac_f32_e32 v0, 0xbf5db3d7, v18
	v_fmac_f32_e32 v16, 0x3f5db3d7, v18
	v_mov_b32_e32 v17, v1
	v_add_f32_e32 v18, v2, v52
	v_fma_f32 v2, -0.5, v19, v2
	v_mul_f32_e32 v63, v29, v23
	v_fmac_f32_e32 v17, 0xbf5db3d7, v26
	v_fmac_f32_e32 v1, 0x3f5db3d7, v26
	v_sub_f32_e32 v19, v57, v59
	v_mov_b32_e32 v24, v2
	v_add_f32_e32 v26, v57, v59
	v_fma_f32 v56, v28, v22, -v63
	v_fmac_f32_e32 v24, 0x3f5db3d7, v19
	v_fmac_f32_e32 v2, 0xbf5db3d7, v19
	v_add_f32_e32 v19, v3, v57
	v_fmac_f32_e32 v3, -0.5, v26
	v_mul_f32_e32 v64, v28, v23
	v_fmac_f32_e32 v62, v27, v20
	v_add_f32_e32 v18, v18, v25
	v_sub_f32_e32 v26, v52, v25
	v_mov_b32_e32 v25, v3
	v_add_f32_e32 v27, v54, v56
	v_fmac_f32_e32 v64, v29, v22
	v_fmac_f32_e32 v25, 0xbf5db3d7, v26
	;; [unrolled: 1-line block ×3, first 2 shown]
	v_add_f32_e32 v26, v4, v54
	v_fma_f32 v4, -0.5, v27, v4
	v_mul_f32_e32 v66, v33, v21
	v_mul_f32_e32 v67, v32, v21
	;; [unrolled: 1-line block ×3, first 2 shown]
	v_sub_f32_e32 v27, v62, v64
	v_mov_b32_e32 v28, v4
	v_add_f32_e32 v29, v62, v64
	v_mul_f32_e32 v69, v30, v23
	v_fma_f32 v58, v32, v20, -v66
	v_fmac_f32_e32 v67, v33, v20
	v_fma_f32 v33, v30, v22, -v68
	v_fmac_f32_e32 v28, 0x3f5db3d7, v27
	v_fmac_f32_e32 v4, 0xbf5db3d7, v27
	v_add_f32_e32 v27, v5, v62
	v_fma_f32 v5, -0.5, v29, v5
	v_fmac_f32_e32 v69, v31, v22
	v_sub_f32_e32 v30, v54, v56
	v_mov_b32_e32 v29, v5
	v_add_f32_e32 v31, v58, v33
	v_mul_f32_e32 v70, v35, v21
	v_fmac_f32_e32 v29, 0xbf5db3d7, v30
	v_fmac_f32_e32 v5, 0x3f5db3d7, v30
	v_add_f32_e32 v30, v6, v58
	v_fma_f32 v6, -0.5, v31, v6
	v_mul_f32_e32 v71, v34, v21
	v_mul_f32_e32 v72, v37, v23
	v_fma_f32 v61, v34, v20, -v70
	v_sub_f32_e32 v31, v67, v69
	v_mov_b32_e32 v32, v6
	v_add_f32_e32 v34, v67, v69
	v_fma_f32 v63, v36, v22, -v72
	v_fmac_f32_e32 v32, 0x3f5db3d7, v31
	v_fmac_f32_e32 v6, 0xbf5db3d7, v31
	v_add_f32_e32 v31, v7, v67
	v_fmac_f32_e32 v7, -0.5, v34
	v_mul_f32_e32 v73, v36, v23
	v_fmac_f32_e32 v71, v35, v20
	v_add_f32_e32 v30, v30, v33
	v_sub_f32_e32 v34, v58, v33
	v_mov_b32_e32 v33, v7
	v_add_f32_e32 v35, v61, v63
	v_fmac_f32_e32 v73, v37, v22
	v_fmac_f32_e32 v33, 0xbf5db3d7, v34
	;; [unrolled: 1-line block ×3, first 2 shown]
	v_add_f32_e32 v34, v8, v61
	v_fma_f32 v8, -0.5, v35, v8
	v_mul_f32_e32 v74, v41, v21
	v_mul_f32_e32 v75, v40, v21
	v_mul_f32_e32 v76, v39, v23
	v_sub_f32_e32 v35, v71, v73
	v_mov_b32_e32 v36, v8
	v_add_f32_e32 v37, v71, v73
	v_mul_f32_e32 v77, v38, v23
	v_fma_f32 v66, v40, v20, -v74
	v_fmac_f32_e32 v75, v41, v20
	v_fma_f32 v41, v38, v22, -v76
	v_fmac_f32_e32 v36, 0x3f5db3d7, v35
	v_fmac_f32_e32 v8, 0xbf5db3d7, v35
	v_add_f32_e32 v35, v9, v71
	v_fma_f32 v9, -0.5, v37, v9
	v_fmac_f32_e32 v77, v39, v22
	v_sub_f32_e32 v38, v61, v63
	v_mov_b32_e32 v37, v9
	v_add_f32_e32 v39, v66, v41
	v_mul_f32_e32 v78, v43, v21
	v_fmac_f32_e32 v37, 0xbf5db3d7, v38
	v_fmac_f32_e32 v9, 0x3f5db3d7, v38
	v_add_f32_e32 v38, v10, v66
	v_fma_f32 v10, -0.5, v39, v10
	v_mul_f32_e32 v79, v42, v21
	v_mul_f32_e32 v80, v50, v23
	v_fma_f32 v68, v42, v20, -v78
	v_sub_f32_e32 v39, v75, v77
	v_mov_b32_e32 v40, v10
	v_add_f32_e32 v42, v75, v77
	v_fma_f32 v70, v49, v22, -v80
	v_fmac_f32_e32 v40, 0x3f5db3d7, v39
	v_fmac_f32_e32 v10, 0xbf5db3d7, v39
	v_add_f32_e32 v39, v11, v75
	v_fmac_f32_e32 v11, -0.5, v42
	v_mul_f32_e32 v81, v49, v23
	v_fmac_f32_e32 v79, v43, v20
	v_add_f32_e32 v38, v38, v41
	v_sub_f32_e32 v42, v66, v41
	v_mov_b32_e32 v41, v11
	v_add_f32_e32 v43, v68, v70
	v_fmac_f32_e32 v81, v50, v22
	v_fmac_f32_e32 v41, 0xbf5db3d7, v42
	;; [unrolled: 1-line block ×3, first 2 shown]
	v_add_f32_e32 v42, v12, v68
	v_fma_f32 v12, -0.5, v43, v12
	v_sub_f32_e32 v43, v79, v81
	v_mov_b32_e32 v49, v12
	v_add_f32_e32 v50, v79, v81
	v_fmac_f32_e32 v49, 0x3f5db3d7, v43
	v_fmac_f32_e32 v12, 0xbf5db3d7, v43
	v_add_f32_e32 v43, v13, v79
	v_fmac_f32_e32 v13, -0.5, v50
	v_sub_f32_e32 v52, v68, v70
	v_mov_b32_e32 v50, v13
	v_fmac_f32_e32 v50, 0xbf5db3d7, v52
	v_fmac_f32_e32 v13, 0x3f5db3d7, v52
	v_lshrrev_b32_e32 v52, 2, v170
	v_mul_u32_u24_e32 v52, 12, v52
	v_or_b32_e32 v52, v52, v51
	v_lshlrev_b32_e32 v202, 3, v52
	ds_write2_b64 v202, v[14:15], v[16:17] offset1:4
	ds_write_b64 v202, v[0:1] offset:64
	v_lshrrev_b32_e32 v0, 2, v60
	v_mul_u32_u24_e32 v0, 12, v0
	v_or_b32_e32 v0, v0, v51
	v_lshlrev_b32_e32 v189, 3, v0
	v_lshrrev_b32_e32 v0, 2, v48
	v_mul_u32_u24_e32 v0, 12, v0
	v_or_b32_e32 v0, v0, v51
	v_lshlrev_b32_e32 v253, 3, v0
	;; [unrolled: 4-line block ×4, first 2 shown]
	v_lshrrev_b32_e32 v0, 2, v45
	v_mul_u32_u24_e32 v0, 12, v0
	v_or_b32_e32 v0, v0, v51
	v_add_f32_e32 v19, v19, v59
	v_add_f32_e32 v26, v26, v56
	;; [unrolled: 1-line block ×7, first 2 shown]
	v_lshlrev_b32_e32 v0, 3, v0
	ds_write2_b64 v189, v[18:19], v[24:25] offset1:4
	ds_write_b64 v189, v[2:3] offset:64
	ds_write2_b64 v253, v[26:27], v[28:29] offset1:4
	ds_write_b64 v253, v[4:5] offset:64
	ds_write2_b64 v254, v[30:31], v[32:33] offset1:4
	ds_write_b64 v254, v[6:7] offset:64
	ds_write2_b64 v255, v[34:35], v[36:37] offset1:4
	ds_write_b64 v255, v[8:9] offset:64
	ds_write2_b64 v0, v[38:39], v[40:41] offset1:4
	buffer_store_dword v0, off, s[20:23], 0 ; 4-byte Folded Spill
	ds_write_b64 v0, v[10:11] offset:64
	v_lshrrev_b32_e32 v0, 2, v44
	v_mul_u32_u24_e32 v0, 12, v0
	v_or_b32_e32 v0, v0, v51
	v_lshlrev_b32_e32 v2, 3, v0
	v_mul_lo_u16_sdwa v0, v170, s14 dst_sel:DWORD dst_unused:UNUSED_PAD src0_sel:BYTE_0 src1_sel:DWORD
	v_lshrrev_b16_e32 v88, 11, v0
	v_mul_lo_u16_e32 v0, 12, v88
	v_sub_u16_e32 v0, v170, v0
	v_and_b32_e32 v89, 0xff, v0
	v_mad_u64_u32 v[0:1], s[2:3], v89, 48, s[4:5]
	v_add_f32_e32 v42, v42, v70
	v_add_f32_e32 v43, v43, v81
	ds_write2_b64 v2, v[42:43], v[49:50] offset1:4
	buffer_store_dword v2, off, s[20:23], 0 offset:4 ; 4-byte Folded Spill
	ds_write_b64 v2, v[12:13] offset:64
	s_waitcnt lgkmcnt(0)
	; wave barrier
	s_waitcnt lgkmcnt(0)
	global_load_dwordx4 v[32:35], v[0:1], off offset:80
	global_load_dwordx4 v[24:27], v[0:1], off offset:96
	v_mul_lo_u16_sdwa v2, v60, s14 dst_sel:DWORD dst_unused:UNUSED_PAD src0_sel:BYTE_0 src1_sel:DWORD
	v_lshrrev_b16_e32 v90, 11, v2
	v_mul_lo_u16_e32 v2, 12, v90
	global_load_dwordx4 v[52:55], v[0:1], off offset:112
	v_sub_u16_e32 v0, v60, v2
	v_and_b32_e32 v91, 0xff, v0
	v_mad_u64_u32 v[0:1], s[2:3], v91, 48, s[4:5]
	global_load_dwordx4 v[44:47], v[0:1], off offset:80
	global_load_dwordx4 v[36:39], v[0:1], off offset:96
	global_load_dwordx4 v[28:31], v[0:1], off offset:112
	v_mul_lo_u16_sdwa v0, v48, s14 dst_sel:DWORD dst_unused:UNUSED_PAD src0_sel:BYTE_0 src1_sel:DWORD
	v_lshrrev_b16_e32 v104, 11, v0
	v_mul_lo_u16_e32 v0, 12, v104
	v_sub_u16_e32 v0, v48, v0
	v_and_b32_e32 v105, 0xff, v0
	v_mad_u64_u32 v[0:1], s[2:3], v105, 48, s[4:5]
	global_load_dwordx4 v[56:59], v[0:1], off offset:80
	global_load_dwordx4 v[48:51], v[0:1], off offset:96
	;; [unrolled: 1-line block ×3, first 2 shown]
	ds_read2_b64 v[0:3], v169 offset1:44
	ds_read2_b64 v[4:7], v169 offset0:88 offset1:132
	ds_read2_b64 v[8:11], v205 offset0:8 offset1:52
	;; [unrolled: 1-line block ×9, first 2 shown]
	ds_read_b64 v[81:82], v169 offset:7040
	s_mov_b32 s2, 0x3f5ff5aa
	s_mov_b32 s3, 0x3f3bfb3b
	s_mov_b32 s14, 0xbf3bfb3b
	s_waitcnt lgkmcnt(0)
	; wave barrier
	s_waitcnt vmcnt(8) lgkmcnt(0)
	v_mul_f32_e32 v83, v7, v33
	v_fma_f32 v83, v6, v32, -v83
	v_mul_f32_e32 v6, v6, v33
	v_fmac_f32_e32 v6, v7, v32
	v_mul_f32_e32 v7, v9, v35
	v_fma_f32 v7, v8, v34, -v7
	v_mul_f32_e32 v8, v8, v35
	v_fmac_f32_e32 v8, v9, v34
	s_waitcnt vmcnt(7)
	v_mul_f32_e32 v9, v15, v25
	v_fma_f32 v9, v14, v24, -v9
	v_mul_f32_e32 v14, v14, v25
	v_fmac_f32_e32 v14, v15, v24
	v_mul_f32_e32 v15, v17, v27
	v_fma_f32 v15, v16, v26, -v15
	v_mul_f32_e32 v16, v16, v27
	v_fmac_f32_e32 v16, v17, v26
	s_waitcnt vmcnt(6)
	;; [unrolled: 9-line block ×3, first 2 shown]
	v_mul_f32_e32 v66, v70, v45
	v_fma_f32 v66, v69, v44, -v66
	v_mul_f32_e32 v69, v69, v45
	v_fmac_f32_e32 v69, v70, v44
	v_mul_f32_e32 v70, v11, v47
	v_fma_f32 v70, v10, v46, -v70
	v_mul_f32_e32 v84, v10, v47
	s_waitcnt vmcnt(4)
	v_mul_f32_e32 v10, v74, v37
	v_fma_f32 v85, v73, v36, -v10
	v_mul_f32_e32 v73, v73, v37
	v_mul_f32_e32 v10, v19, v39
	v_fmac_f32_e32 v73, v74, v36
	v_fma_f32 v74, v18, v38, -v10
	v_mul_f32_e32 v18, v18, v39
	s_waitcnt vmcnt(3)
	v_mul_f32_e32 v10, v78, v29
	v_fmac_f32_e32 v18, v19, v38
	v_fma_f32 v19, v77, v28, -v10
	v_mul_f32_e32 v77, v77, v29
	v_mul_f32_e32 v10, v68, v31
	v_fmac_f32_e32 v77, v78, v28
	v_fma_f32 v78, v67, v30, -v10
	v_mul_f32_e32 v67, v67, v31
	s_waitcnt vmcnt(2)
	v_mul_f32_e32 v10, v72, v57
	v_fmac_f32_e32 v67, v68, v30
	v_fma_f32 v68, v71, v56, -v10
	v_mul_f32_e32 v71, v71, v57
	v_mul_f32_e32 v10, v13, v59
	v_fmac_f32_e32 v71, v72, v56
	v_fma_f32 v72, v12, v58, -v10
	s_waitcnt vmcnt(1)
	v_mul_f32_e32 v10, v76, v49
	v_fma_f32 v87, v75, v48, -v10
	v_mul_f32_e32 v75, v75, v49
	v_mul_f32_e32 v10, v62, v51
	v_fmac_f32_e32 v75, v76, v48
	v_fma_f32 v76, v61, v50, -v10
	s_waitcnt vmcnt(0)
	v_mul_f32_e32 v10, v80, v41
	v_mul_f32_e32 v86, v12, v59
	v_fma_f32 v93, v79, v40, -v10
	v_mul_f32_e32 v10, v82, v43
	v_fmac_f32_e32 v86, v13, v58
	v_fma_f32 v94, v81, v42, -v10
	v_add_f32_e32 v10, v83, v64
	v_add_f32_e32 v13, v7, v17
	v_fmac_f32_e32 v84, v11, v46
	v_mul_f32_e32 v92, v61, v51
	v_add_f32_e32 v11, v6, v65
	v_add_f32_e32 v61, v8, v63
	v_sub_f32_e32 v7, v7, v17
	v_add_f32_e32 v17, v9, v15
	v_sub_f32_e32 v9, v15, v9
	v_add_f32_e32 v15, v13, v10
	v_fmac_f32_e32 v92, v62, v50
	v_add_f32_e32 v62, v14, v16
	v_sub_f32_e32 v14, v16, v14
	v_add_f32_e32 v16, v61, v11
	v_add_f32_e32 v15, v17, v15
	;; [unrolled: 1-line block ×4, first 2 shown]
	v_mul_f32_e32 v79, v79, v41
	v_mul_f32_e32 v95, v81, v43
	v_sub_f32_e32 v12, v83, v64
	v_sub_f32_e32 v6, v6, v65
	;; [unrolled: 1-line block ×9, first 2 shown]
	v_add_f32_e32 v65, v9, v7
	v_sub_f32_e32 v81, v9, v7
	v_add_f32_e32 v1, v1, v16
	v_mov_b32_e32 v83, v0
	v_fmac_f32_e32 v79, v80, v40
	v_fmac_f32_e32 v95, v82, v42
	v_add_f32_e32 v80, v14, v8
	v_sub_f32_e32 v82, v14, v8
	v_sub_f32_e32 v9, v12, v9
	;; [unrolled: 1-line block ×4, first 2 shown]
	v_add_f32_e32 v12, v65, v12
	v_mul_f32_e32 v10, 0x3f4a47b2, v10
	v_mul_f32_e32 v11, 0x3f4a47b2, v11
	v_mul_f32_e32 v17, 0x3d64c772, v13
	v_mul_f32_e32 v62, 0x3d64c772, v61
	v_mul_f32_e32 v65, 0xbf08b237, v81
	v_fmac_f32_e32 v83, 0xbf955555, v15
	v_mov_b32_e32 v15, v1
	v_sub_f32_e32 v14, v6, v14
	v_add_f32_e32 v6, v80, v6
	v_mul_f32_e32 v80, 0xbf08b237, v82
	v_mul_f32_e32 v81, 0x3f5ff5aa, v7
	;; [unrolled: 1-line block ×3, first 2 shown]
	v_fmac_f32_e32 v15, 0xbf955555, v16
	v_fma_f32 v16, v63, s3, -v17
	v_fma_f32 v17, v64, s3, -v62
	;; [unrolled: 1-line block ×3, first 2 shown]
	v_fmac_f32_e32 v10, 0x3d64c772, v13
	v_fma_f32 v13, v64, s14, -v11
	v_fmac_f32_e32 v11, 0x3d64c772, v61
	v_fma_f32 v61, v7, s2, -v65
	;; [unrolled: 2-line block ×4, first 2 shown]
	v_fma_f32 v14, v14, s15, -v82
	v_add_f32_e32 v82, v11, v15
	v_add_f32_e32 v17, v17, v15
	v_fmac_f32_e32 v65, 0x3ee1c552, v12
	v_fmac_f32_e32 v61, 0x3ee1c552, v12
	v_add_f32_e32 v16, v16, v83
	v_add_f32_e32 v62, v62, v83
	;; [unrolled: 1-line block ×3, first 2 shown]
	v_fmac_f32_e32 v63, 0x3ee1c552, v6
	v_fmac_f32_e32 v64, 0x3ee1c552, v12
	;; [unrolled: 1-line block ×3, first 2 shown]
	v_sub_f32_e32 v7, v82, v65
	v_add_f32_e32 v11, v61, v17
	v_sub_f32_e32 v13, v17, v61
	v_add_f32_e32 v17, v65, v82
	v_add_f32_e32 v61, v66, v78
	;; [unrolled: 1-line block ×5, first 2 shown]
	v_sub_f32_e32 v9, v15, v64
	v_sub_f32_e32 v10, v16, v63
	v_add_f32_e32 v12, v63, v16
	v_sub_f32_e32 v14, v62, v14
	v_add_f32_e32 v15, v64, v15
	v_add_f32_e32 v62, v69, v67
	v_sub_f32_e32 v63, v66, v78
	v_sub_f32_e32 v64, v69, v67
	v_add_f32_e32 v66, v84, v77
	v_sub_f32_e32 v19, v70, v19
	v_add_f32_e32 v69, v85, v74
	v_add_f32_e32 v70, v73, v18
	v_sub_f32_e32 v18, v18, v73
	v_add_f32_e32 v73, v65, v61
	v_fmac_f32_e32 v80, 0x3ee1c552, v6
	v_sub_f32_e32 v67, v84, v77
	v_sub_f32_e32 v74, v74, v85
	v_add_f32_e32 v77, v66, v62
	v_sub_f32_e32 v78, v65, v61
	v_sub_f32_e32 v61, v61, v69
	;; [unrolled: 1-line block ×3, first 2 shown]
	v_add_f32_e32 v69, v69, v73
	v_add_f32_e32 v6, v80, v81
	v_sub_f32_e32 v16, v81, v80
	v_sub_f32_e32 v80, v66, v62
	;; [unrolled: 1-line block ×5, first 2 shown]
	v_add_f32_e32 v70, v70, v77
	v_add_f32_e32 v2, v2, v69
	;; [unrolled: 1-line block ×3, first 2 shown]
	v_sub_f32_e32 v19, v19, v63
	v_add_f32_e32 v3, v3, v70
	v_mul_f32_e32 v85, 0xbf08b237, v83
	v_mov_b32_e32 v83, v2
	v_add_f32_e32 v82, v18, v67
	v_sub_f32_e32 v84, v18, v67
	v_sub_f32_e32 v74, v63, v74
	;; [unrolled: 1-line block ×3, first 2 shown]
	v_add_f32_e32 v63, v81, v63
	v_mul_f32_e32 v61, 0x3f4a47b2, v61
	v_mul_f32_e32 v62, 0x3f4a47b2, v62
	;; [unrolled: 1-line block ×5, first 2 shown]
	v_fmac_f32_e32 v83, 0xbf955555, v69
	v_mov_b32_e32 v69, v3
	v_sub_f32_e32 v18, v64, v18
	v_add_f32_e32 v64, v82, v64
	v_mul_f32_e32 v84, 0xbf08b237, v84
	v_mul_f32_e32 v82, 0x3f5ff5aa, v67
	v_fmac_f32_e32 v69, 0xbf955555, v70
	v_fma_f32 v70, v78, s3, -v73
	v_fma_f32 v73, v80, s3, -v77
	;; [unrolled: 1-line block ×3, first 2 shown]
	v_fmac_f32_e32 v61, 0x3d64c772, v65
	v_fma_f32 v65, v80, s14, -v62
	v_fmac_f32_e32 v62, 0x3d64c772, v66
	v_fma_f32 v66, v19, s2, -v85
	;; [unrolled: 2-line block ×3, first 2 shown]
	v_fma_f32 v67, v67, s2, -v84
	v_fma_f32 v78, v18, s15, -v82
	v_add_f32_e32 v65, v65, v69
	v_fmac_f32_e32 v74, 0x3ee1c552, v63
	v_fmac_f32_e32 v84, 0x3eae86e6, v18
	v_add_f32_e32 v96, v61, v83
	v_add_f32_e32 v97, v62, v69
	;; [unrolled: 1-line block ×5, first 2 shown]
	v_fmac_f32_e32 v66, 0x3ee1c552, v63
	v_fmac_f32_e32 v67, 0x3ee1c552, v64
	v_fmac_f32_e32 v78, 0x3ee1c552, v64
	v_sub_f32_e32 v62, v65, v74
	v_add_f32_e32 v83, v74, v65
	v_add_f32_e32 v65, v68, v94
	;; [unrolled: 1-line block ×3, first 2 shown]
	v_fmac_f32_e32 v85, 0x3ee1c552, v63
	v_fmac_f32_e32 v84, 0x3ee1c552, v64
	v_add_f32_e32 v61, v78, v77
	v_sub_f32_e32 v63, v70, v67
	v_add_f32_e32 v64, v66, v73
	v_add_f32_e32 v80, v67, v70
	v_sub_f32_e32 v81, v73, v66
	v_sub_f32_e32 v82, v77, v78
	v_add_f32_e32 v66, v71, v95
	v_sub_f32_e32 v67, v68, v94
	v_sub_f32_e32 v68, v71, v95
	v_add_f32_e32 v70, v86, v79
	v_sub_f32_e32 v71, v72, v93
	v_add_f32_e32 v73, v87, v76
	;; [unrolled: 2-line block ×5, first 2 shown]
	v_sub_f32_e32 v79, v69, v65
	v_sub_f32_e32 v65, v65, v73
	;; [unrolled: 1-line block ×3, first 2 shown]
	v_add_f32_e32 v86, v76, v71
	v_add_f32_e32 v73, v73, v77
	v_sub_f32_e32 v92, v70, v66
	v_sub_f32_e32 v66, v66, v74
	;; [unrolled: 1-line block ×3, first 2 shown]
	v_add_f32_e32 v87, v75, v72
	v_sub_f32_e32 v93, v76, v71
	v_sub_f32_e32 v76, v67, v76
	;; [unrolled: 1-line block ×3, first 2 shown]
	v_add_f32_e32 v74, v74, v78
	v_add_f32_e32 v67, v86, v67
	;; [unrolled: 1-line block ×3, first 2 shown]
	v_sub_f32_e32 v94, v75, v72
	v_sub_f32_e32 v75, v68, v75
	;; [unrolled: 1-line block ×3, first 2 shown]
	v_add_f32_e32 v68, v87, v68
	v_add_f32_e32 v87, v5, v74
	v_mov_b32_e32 v95, v86
	v_mul_f32_e32 v4, 0x3f4a47b2, v65
	v_mul_f32_e32 v5, 0x3f4a47b2, v66
	;; [unrolled: 1-line block ×4, first 2 shown]
	v_fmac_f32_e32 v95, 0xbf955555, v73
	v_mov_b32_e32 v73, v87
	v_mul_f32_e32 v65, 0x3d64c772, v69
	v_mul_f32_e32 v66, 0x3d64c772, v70
	;; [unrolled: 1-line block ×3, first 2 shown]
	v_fmac_f32_e32 v73, 0xbf955555, v74
	v_fma_f32 v74, v79, s14, -v4
	v_fmac_f32_e32 v4, 0x3d64c772, v69
	v_fma_f32 v69, v92, s14, -v5
	;; [unrolled: 2-line block ×3, first 2 shown]
	v_fma_f32 v71, v72, s2, -v78
	v_fmac_f32_e32 v78, 0x3eae86e6, v75
	v_add_f32_e32 v4, v4, v95
	v_fmac_f32_e32 v78, 0x3ee1c552, v68
	v_add_f32_e32 v100, v78, v4
	v_sub_f32_e32 v98, v4, v78
	v_mul_u32_u24_e32 v4, 0x54, v88
	v_add_lshl_u32 v4, v4, v89, 3
	ds_write2_b64 v4, v[0:1], v[6:7] offset1:12
	ds_write2_b64 v4, v[8:9], v[10:11] offset0:24 offset1:36
	ds_write2_b64 v4, v[12:13], v[14:15] offset0:48 offset1:60
	v_mul_u32_u24_e32 v0, 0x54, v90
	v_add_f32_e32 v18, v84, v96
	v_sub_f32_e32 v19, v97, v85
	v_sub_f32_e32 v84, v96, v84
	v_add_f32_e32 v85, v85, v97
	v_mul_f32_e32 v94, 0x3f5ff5aa, v72
	v_fmac_f32_e32 v77, 0x3eae86e6, v76
	v_add_lshl_u32 v0, v0, v91, 3
	v_fma_f32 v65, v79, s3, -v65
	v_fma_f32 v66, v92, s3, -v66
	;; [unrolled: 1-line block ×4, first 2 shown]
	v_add_f32_e32 v5, v5, v73
	v_fmac_f32_e32 v77, 0x3ee1c552, v67
	buffer_store_dword v4, off, s[20:23], 0 offset:8 ; 4-byte Folded Spill
	ds_write_b64 v4, v[16:17] offset:576
	ds_write2_b64 v0, v[2:3], v[18:19] offset1:12
	ds_write2_b64 v0, v[61:62], v[63:64] offset0:24 offset1:36
	ds_write2_b64 v0, v[80:81], v[82:83] offset0:48 offset1:60
	buffer_store_dword v0, off, s[20:23], 0 offset:12 ; 4-byte Folded Spill
	ds_write_b64 v0, v[84:85] offset:576
	v_mul_u32_u24_e32 v0, 0x54, v104
	v_add_f32_e32 v65, v65, v95
	v_add_f32_e32 v66, v66, v73
	;; [unrolled: 1-line block ×4, first 2 shown]
	v_fmac_f32_e32 v70, 0x3ee1c552, v67
	v_fmac_f32_e32 v71, 0x3ee1c552, v68
	;; [unrolled: 1-line block ×4, first 2 shown]
	v_sub_f32_e32 v101, v5, v77
	v_add_f32_e32 v99, v77, v5
	v_add_lshl_u32 v0, v0, v105, 3
	v_add_f32_e32 v102, v75, v74
	v_sub_f32_e32 v103, v69, v72
	v_sub_f32_e32 v92, v65, v71
	v_add_f32_e32 v93, v70, v66
	v_add_f32_e32 v94, v71, v65
	v_sub_f32_e32 v95, v66, v70
	v_sub_f32_e32 v96, v74, v75
	v_add_f32_e32 v97, v72, v69
	ds_write2_b64 v0, v[86:87], v[100:101] offset1:12
	ds_write2_b64 v0, v[102:103], v[92:93] offset0:24 offset1:36
	ds_write2_b64 v0, v[94:95], v[96:97] offset0:48 offset1:60
	buffer_store_dword v0, off, s[20:23], 0 offset:16 ; 4-byte Folded Spill
	ds_write_b64 v0, v[98:99] offset:576
	s_waitcnt lgkmcnt(0)
	; wave barrier
	s_waitcnt lgkmcnt(0)
	ds_read2_b64 v[88:91], v169 offset1:84
	ds_read2_b64 v[116:119], v169 offset0:168 offset1:252
	ds_read2_b64 v[108:111], v205 offset0:80 offset1:164
	;; [unrolled: 1-line block ×4, first 2 shown]
	ds_read_b64 v[122:123], v169 offset:6720
	v_cmp_gt_u16_e64 s[2:3], 40, v170
	s_and_saveexec_b64 s[14:15], s[2:3]
	s_cbranch_execz .LBB0_13
; %bb.12:
	v_add_u32_e32 v0, 0x400, v169
	ds_read2_b64 v[80:83], v169 offset0:44 offset1:128
	ds_read2_b64 v[84:87], v0 offset0:84 offset1:168
	;; [unrolled: 1-line block ×4, first 2 shown]
	v_add_u32_e32 v0, 0x1400, v169
	ds_read2_b64 v[96:99], v0 offset0:76 offset1:160
	ds_read_b64 v[120:121], v169 offset:7072
.LBB0_13:
	s_or_b64 exec, exec, s[14:15]
	v_subrev_u32_e32 v0, 40, v170
	v_cndmask_b32_e64 v0, v0, v60, s[2:3]
	v_mov_b32_e32 v9, s5
	v_mul_hi_i32_i24_e32 v1, 0x50, v0
	v_mul_i32_i24_e32 v0, 0x50, v0
	s_movk_i32 s14, 0x50
	v_mov_b32_e32 v8, s4
	v_mov_b32_e32 v2, s5
	v_add_co_u32_e32 v16, vcc, s4, v0
	v_mad_u64_u32 v[8:9], s[4:5], v170, s14, v[8:9]
	v_addc_co_u32_e32 v17, vcc, v2, v1, vcc
	global_load_dwordx4 v[0:3], v[16:17], off offset:688
	global_load_dwordx4 v[4:7], v[16:17], off offset:672
	;; [unrolled: 1-line block ×8, first 2 shown]
	s_nop 0
	global_load_dwordx4 v[8:11], v[16:17], off offset:704
	s_nop 0
	global_load_dwordx4 v[16:19], v[16:17], off offset:720
	s_mov_b32 s14, 0x3f575c64
	s_mov_b32 s15, 0x3ed4b147
	;; [unrolled: 1-line block ×5, first 2 shown]
	s_waitcnt vmcnt(7) lgkmcnt(5)
	v_mul_f32_e32 v217, v91, v77
	v_mul_f32_e32 v218, v90, v77
	s_waitcnt lgkmcnt(4)
	v_mul_f32_e32 v219, v117, v79
	s_waitcnt vmcnt(6)
	v_mul_f32_e32 v221, v119, v73
	v_mul_f32_e32 v220, v116, v79
	s_waitcnt vmcnt(2)
	v_mul_f32_e32 v237, v83, v13
	s_waitcnt lgkmcnt(3)
	v_mul_f32_e32 v208, v100, v7
	v_mul_f32_e32 v214, v101, v7
	s_waitcnt lgkmcnt(2)
	v_mul_f32_e32 v210, v92, v3
	v_mul_f32_e32 v211, v82, v13
	v_fmac_f32_e32 v208, v101, v6
	v_fma_f32 v101, v90, v76, -v217
	v_fma_f32 v90, v82, v12, -v237
	s_waitcnt vmcnt(1)
	v_mul_f32_e32 v82, v95, v9
	v_mul_f32_e32 v207, v86, v5
	;; [unrolled: 1-line block ×5, first 2 shown]
	v_fmac_f32_e32 v210, v93, v2
	v_fma_f32 v82, v94, v8, -v82
	v_mul_f32_e32 v93, v94, v9
	s_waitcnt lgkmcnt(1)
	v_mul_f32_e32 v94, v96, v11
	v_mul_f32_e32 v213, v87, v5
	;; [unrolled: 1-line block ×4, first 2 shown]
	v_fmac_f32_e32 v207, v87, v4
	v_fma_f32 v87, v100, v6, -v214
	v_fma_f32 v100, v102, v0, -v215
	v_fma_f32 v102, v116, v78, -v219
	v_fmac_f32_e32 v211, v83, v12
	v_fma_f32 v83, v84, v14, -v238
	v_mul_f32_e32 v84, v97, v11
	v_fmac_f32_e32 v94, v97, v10
	v_add_f32_e32 v97, v88, v101
	v_mul_f32_e32 v223, v109, v75
	v_fmac_f32_e32 v209, v103, v0
	v_fmac_f32_e32 v218, v91, v76
	v_fma_f32 v103, v118, v72, -v221
	v_fmac_f32_e32 v212, v85, v14
	s_waitcnt vmcnt(0)
	v_mul_f32_e32 v85, v99, v17
	v_add_f32_e32 v97, v97, v102
	v_mul_f32_e32 v222, v118, v73
	v_mul_f32_e32 v224, v108, v75
	v_mul_f32_e32 v225, v111, v69
	v_fmac_f32_e32 v220, v117, v78
	v_fma_f32 v108, v108, v74, -v223
	v_fmac_f32_e32 v93, v95, v8
	v_fma_f32 v85, v98, v16, -v85
	v_mul_f32_e32 v95, v98, v17
	v_add_f32_e32 v98, v89, v218
	v_add_f32_e32 v97, v97, v103
	v_mul_f32_e32 v227, v113, v71
	v_fmac_f32_e32 v222, v119, v72
	v_fmac_f32_e32 v224, v109, v74
	v_fma_f32 v109, v110, v68, -v225
	v_add_f32_e32 v98, v98, v220
	v_add_f32_e32 v97, v97, v108
	v_mul_f32_e32 v226, v110, v69
	v_mul_f32_e32 v229, v115, v65
	v_fma_f32 v110, v112, v70, -v227
	v_add_f32_e32 v98, v98, v222
	v_add_f32_e32 v97, v97, v109
	v_mul_f32_e32 v228, v112, v71
	v_mul_f32_e32 v230, v105, v67
	v_fmac_f32_e32 v226, v111, v68
	v_fma_f32 v111, v114, v64, -v229
	v_add_f32_e32 v98, v98, v224
	v_add_f32_e32 v97, v97, v110
	v_mul_f32_e32 v231, v114, v65
	v_mul_f32_e32 v232, v104, v67
	;; [unrolled: 1-line block ×3, first 2 shown]
	v_fmac_f32_e32 v228, v113, v70
	v_fma_f32 v104, v104, v66, -v230
	v_add_f32_e32 v98, v98, v226
	v_add_f32_e32 v97, v97, v111
	s_waitcnt lgkmcnt(0)
	v_mul_f32_e32 v235, v123, v63
	v_mul_f32_e32 v236, v122, v63
	v_fmac_f32_e32 v231, v115, v64
	v_fmac_f32_e32 v232, v105, v66
	v_fma_f32 v105, v106, v60, -v233
	v_add_f32_e32 v98, v98, v228
	v_add_f32_e32 v97, v97, v104
	v_mul_f32_e32 v234, v106, v61
	v_fma_f32 v106, v122, v62, -v235
	v_fmac_f32_e32 v236, v123, v62
	v_add_f32_e32 v98, v98, v231
	v_add_f32_e32 v97, v97, v105
	v_fmac_f32_e32 v234, v107, v60
	v_fmac_f32_e32 v95, v99, v16
	v_mul_f32_e32 v91, v121, v19
	v_add_f32_e32 v98, v98, v232
	v_add_f32_e32 v229, v97, v106
	;; [unrolled: 1-line block ×3, first 2 shown]
	v_sub_f32_e32 v99, v101, v106
	v_sub_f32_e32 v101, v218, v236
	v_fma_f32 v86, v86, v4, -v213
	v_fma_f32 v84, v96, v10, -v84
	;; [unrolled: 1-line block ×3, first 2 shown]
	v_mul_f32_e32 v96, v120, v19
	v_add_f32_e32 v98, v98, v234
	v_mul_f32_e32 v106, 0xbf0a6770, v101
	v_mul_f32_e32 v112, 0xbf0a6770, v99
	;; [unrolled: 1-line block ×10, first 2 shown]
	v_fma_f32 v92, v92, v2, -v216
	v_fmac_f32_e32 v96, v121, v18
	v_add_f32_e32 v230, v98, v236
	v_add_f32_e32 v98, v218, v236
	v_fma_f32 v107, v97, s14, -v106
	v_mov_b32_e32 v113, v112
	v_fmac_f32_e32 v106, 0x3f575c64, v97
	v_fma_f32 v115, v97, s15, -v114
	v_mov_b32_e32 v117, v116
	v_fmac_f32_e32 v114, 0x3ed4b147, v97
	;; [unrolled: 3-line block ×5, first 2 shown]
	v_add_f32_e32 v107, v88, v107
	v_fmac_f32_e32 v113, 0x3f575c64, v98
	v_add_f32_e32 v106, v88, v106
	v_fma_f32 v112, v98, s14, -v112
	v_add_f32_e32 v115, v88, v115
	v_fmac_f32_e32 v117, 0x3ed4b147, v98
	v_add_f32_e32 v114, v88, v114
	v_fma_f32 v116, v98, s15, -v116
	;; [unrolled: 4-line block ×5, first 2 shown]
	v_sub_f32_e32 v101, v220, v234
	v_add_f32_e32 v113, v89, v113
	v_add_f32_e32 v112, v89, v112
	;; [unrolled: 1-line block ×11, first 2 shown]
	v_sub_f32_e32 v99, v102, v105
	v_mul_f32_e32 v102, 0xbf68dda4, v101
	v_fma_f32 v105, v97, s15, -v102
	v_add_f32_e32 v98, v220, v234
	v_add_f32_e32 v105, v105, v107
	v_mul_f32_e32 v107, 0xbf68dda4, v99
	v_fmac_f32_e32 v102, 0x3ed4b147, v97
	v_mov_b32_e32 v217, v107
	v_add_f32_e32 v102, v102, v106
	v_fma_f32 v106, v98, s15, -v107
	v_mul_f32_e32 v107, 0xbf4178ce, v101
	v_add_f32_e32 v106, v106, v112
	v_fma_f32 v112, v97, s18, -v107
	v_fmac_f32_e32 v217, 0x3ed4b147, v98
	v_add_f32_e32 v112, v112, v115
	v_mul_f32_e32 v115, 0xbf4178ce, v99
	v_fmac_f32_e32 v107, 0xbf27a4f4, v97
	v_add_f32_e32 v113, v217, v113
	v_mov_b32_e32 v217, v115
	v_add_f32_e32 v107, v107, v114
	v_fma_f32 v114, v98, s18, -v115
	v_mul_f32_e32 v115, 0x3e903f40, v101
	v_add_f32_e32 v114, v114, v116
	v_fma_f32 v116, v97, s19, -v115
	v_fmac_f32_e32 v217, 0xbf27a4f4, v98
	v_add_f32_e32 v116, v116, v119
	v_mul_f32_e32 v119, 0x3e903f40, v99
	v_fmac_f32_e32 v115, 0xbf75a155, v97
	v_add_f32_e32 v117, v217, v117
	v_mov_b32_e32 v217, v119
	v_add_f32_e32 v115, v115, v118
	v_fma_f32 v118, v98, s19, -v119
	v_mul_f32_e32 v119, 0x3f7d64f0, v101
	v_add_f32_e32 v118, v118, v120
	v_fma_f32 v120, v97, s16, -v119
	v_fmac_f32_e32 v217, 0xbf75a155, v98
	v_add_f32_e32 v120, v120, v123
	v_mul_f32_e32 v123, 0x3f7d64f0, v99
	v_fmac_f32_e32 v119, 0xbe11bafb, v97
	v_mul_f32_e32 v101, 0x3f0a6770, v101
	v_add_f32_e32 v121, v217, v121
	v_mov_b32_e32 v217, v123
	v_add_f32_e32 v119, v119, v122
	v_fma_f32 v122, v98, s16, -v123
	v_fma_f32 v123, v97, s14, -v101
	v_mul_f32_e32 v99, 0x3f0a6770, v99
	v_fmac_f32_e32 v101, 0x3f575c64, v97
	v_add_f32_e32 v88, v101, v88
	v_fma_f32 v97, v98, s14, -v99
	v_sub_f32_e32 v101, v222, v232
	v_add_f32_e32 v122, v122, v213
	v_mov_b32_e32 v213, v99
	v_add_f32_e32 v89, v97, v89
	v_add_f32_e32 v97, v103, v104
	v_sub_f32_e32 v99, v103, v104
	v_mul_f32_e32 v103, 0xbf7d64f0, v101
	v_fma_f32 v104, v97, s16, -v103
	v_fmac_f32_e32 v217, 0xbe11bafb, v98
	v_fmac_f32_e32 v213, 0x3f575c64, v98
	v_add_f32_e32 v98, v222, v232
	v_add_f32_e32 v104, v104, v105
	v_mul_f32_e32 v105, 0xbf7d64f0, v99
	v_fmac_f32_e32 v103, 0xbe11bafb, v97
	v_add_f32_e32 v123, v123, v215
	v_mov_b32_e32 v215, v105
	v_add_f32_e32 v102, v103, v102
	v_fma_f32 v103, v98, s16, -v105
	v_mul_f32_e32 v105, 0x3e903f40, v101
	v_add_f32_e32 v103, v103, v106
	v_fma_f32 v106, v97, s19, -v105
	v_fmac_f32_e32 v215, 0xbe11bafb, v98
	v_add_f32_e32 v106, v106, v112
	v_mul_f32_e32 v112, 0x3e903f40, v99
	v_fmac_f32_e32 v105, 0xbf75a155, v97
	v_add_f32_e32 v113, v215, v113
	v_mov_b32_e32 v215, v112
	v_add_f32_e32 v105, v105, v107
	v_fma_f32 v107, v98, s19, -v112
	v_mul_f32_e32 v112, 0x3f68dda4, v101
	v_add_f32_e32 v107, v107, v114
	v_fma_f32 v114, v97, s15, -v112
	v_fmac_f32_e32 v215, 0xbf75a155, v98
	;; [unrolled: 11-line block ×3, first 2 shown]
	v_add_f32_e32 v118, v118, v120
	v_mul_f32_e32 v120, 0xbf0a6770, v99
	v_fmac_f32_e32 v116, 0x3f575c64, v97
	v_mul_f32_e32 v101, 0xbf4178ce, v101
	v_add_f32_e32 v121, v215, v121
	v_mov_b32_e32 v215, v120
	v_add_f32_e32 v116, v116, v119
	v_fma_f32 v119, v98, s14, -v120
	v_fma_f32 v120, v97, s18, -v101
	v_mul_f32_e32 v99, 0xbf4178ce, v99
	v_fmac_f32_e32 v101, 0xbf27a4f4, v97
	v_add_f32_e32 v88, v101, v88
	v_fma_f32 v97, v98, s18, -v99
	v_sub_f32_e32 v101, v224, v231
	v_add_f32_e32 v119, v119, v122
	v_mov_b32_e32 v122, v99
	v_add_f32_e32 v89, v97, v89
	v_add_f32_e32 v97, v108, v111
	v_sub_f32_e32 v99, v108, v111
	v_mul_f32_e32 v108, 0xbf4178ce, v101
	v_fma_f32 v111, v97, s18, -v108
	v_fmac_f32_e32 v215, 0x3f575c64, v98
	v_fmac_f32_e32 v122, 0xbf27a4f4, v98
	v_add_f32_e32 v98, v224, v231
	v_add_f32_e32 v104, v111, v104
	v_mul_f32_e32 v111, 0xbf4178ce, v99
	v_fmac_f32_e32 v108, 0xbf27a4f4, v97
	v_add_f32_e32 v102, v108, v102
	v_fma_f32 v108, v98, s18, -v111
	v_add_f32_e32 v103, v108, v103
	v_mul_f32_e32 v108, 0x3f7d64f0, v101
	v_add_f32_e32 v120, v120, v123
	v_mov_b32_e32 v123, v111
	v_fma_f32 v111, v97, s16, -v108
	v_add_f32_e32 v106, v111, v106
	v_mul_f32_e32 v111, 0x3f7d64f0, v99
	v_fmac_f32_e32 v108, 0xbe11bafb, v97
	v_add_f32_e32 v105, v108, v105
	v_fma_f32 v108, v98, s16, -v111
	v_fmac_f32_e32 v123, 0xbf27a4f4, v98
	v_add_f32_e32 v107, v108, v107
	v_mul_f32_e32 v108, 0xbf0a6770, v101
	v_add_f32_e32 v113, v123, v113
	v_mov_b32_e32 v123, v111
	v_fma_f32 v111, v97, s14, -v108
	v_fmac_f32_e32 v123, 0xbe11bafb, v98
	v_add_f32_e32 v111, v111, v114
	v_mul_f32_e32 v114, 0xbf0a6770, v99
	v_fmac_f32_e32 v108, 0x3f575c64, v97
	v_add_f32_e32 v117, v123, v117
	v_mov_b32_e32 v123, v114
	v_add_f32_e32 v108, v108, v112
	v_fma_f32 v112, v98, s14, -v114
	v_mul_f32_e32 v114, 0xbe903f40, v101
	v_add_f32_e32 v112, v112, v115
	v_fma_f32 v115, v97, s19, -v114
	v_fmac_f32_e32 v123, 0x3f575c64, v98
	v_add_f32_e32 v115, v115, v118
	v_mul_f32_e32 v118, 0xbe903f40, v99
	v_fmac_f32_e32 v114, 0xbf75a155, v97
	v_mul_f32_e32 v101, 0x3f68dda4, v101
	v_add_f32_e32 v121, v123, v121
	v_mov_b32_e32 v123, v118
	v_add_f32_e32 v114, v114, v116
	v_fma_f32 v116, v98, s19, -v118
	v_fma_f32 v118, v97, s15, -v101
	v_mul_f32_e32 v99, 0x3f68dda4, v99
	v_fmac_f32_e32 v101, 0x3ed4b147, v97
	v_add_f32_e32 v88, v101, v88
	v_fma_f32 v97, v98, s15, -v99
	v_sub_f32_e32 v101, v226, v228
	v_add_f32_e32 v116, v116, v119
	v_mov_b32_e32 v119, v99
	v_add_f32_e32 v89, v97, v89
	v_add_f32_e32 v97, v109, v110
	v_sub_f32_e32 v99, v109, v110
	v_mul_f32_e32 v109, 0xbe903f40, v101
	v_fma_f32 v110, v97, s19, -v109
	v_fmac_f32_e32 v123, 0xbf75a155, v98
	v_fmac_f32_e32 v119, 0x3ed4b147, v98
	v_add_f32_e32 v98, v226, v228
	v_add_f32_e32 v231, v110, v104
	v_mul_f32_e32 v104, 0xbe903f40, v99
	v_fmac_f32_e32 v109, 0xbf75a155, v97
	v_add_f32_e32 v233, v109, v102
	v_fma_f32 v102, v98, s19, -v104
	v_add_f32_e32 v234, v102, v103
	v_mul_f32_e32 v102, 0x3f0a6770, v101
	v_fma_f32 v103, v97, s14, -v102
	v_add_f32_e32 v235, v103, v106
	v_mul_f32_e32 v103, 0x3f0a6770, v99
	v_fmac_f32_e32 v102, 0x3f575c64, v97
	v_add_f32_e32 v237, v102, v105
	v_fma_f32 v102, v98, s14, -v103
	v_add_f32_e32 v238, v102, v107
	v_mul_f32_e32 v102, 0xbf4178ce, v101
	v_mov_b32_e32 v110, v104
	v_mov_b32_e32 v104, v103
	v_fma_f32 v103, v97, s18, -v102
	v_add_f32_e32 v239, v103, v111
	v_mul_f32_e32 v103, 0xbf4178ce, v99
	v_fmac_f32_e32 v102, 0xbf27a4f4, v97
	v_add_f32_e32 v241, v102, v108
	v_fma_f32 v102, v98, s18, -v103
	v_fmac_f32_e32 v104, 0x3f575c64, v98
	v_add_f32_e32 v242, v102, v112
	v_mul_f32_e32 v102, 0x3f68dda4, v101
	v_add_f32_e32 v236, v104, v117
	v_mov_b32_e32 v104, v103
	v_fma_f32 v103, v97, s15, -v102
	v_add_f32_e32 v243, v103, v115
	v_mul_f32_e32 v103, 0x3f68dda4, v99
	v_fmac_f32_e32 v102, 0x3ed4b147, v97
	v_add_f32_e32 v245, v102, v114
	v_fma_f32 v102, v98, s15, -v103
	v_mul_f32_e32 v101, 0xbf7d64f0, v101
	v_add_f32_e32 v214, v217, v214
	v_add_f32_e32 v246, v102, v116
	v_fma_f32 v102, v97, s16, -v101
	v_mul_f32_e32 v99, 0xbf7d64f0, v99
	v_fmac_f32_e32 v101, 0xbe11bafb, v97
	v_sub_f32_e32 v115, v211, v96
	v_add_f32_e32 v214, v215, v214
	v_add_f32_e32 v249, v101, v88
	v_fma_f32 v88, v98, s16, -v99
	v_mul_f32_e32 v105, 0xbf0a6770, v115
	v_add_f32_e32 v123, v123, v214
	v_add_f32_e32 v250, v88, v89
	v_add_f32_e32 v88, v90, v91
	v_sub_f32_e32 v214, v90, v91
	v_mov_b32_e32 v97, v105
	v_add_f32_e32 v118, v118, v120
	v_add_f32_e32 v89, v211, v96
	v_mul_f32_e32 v107, 0xbf0a6770, v214
	v_fmac_f32_e32 v97, 0x3f575c64, v88
	v_add_f32_e32 v213, v213, v216
	v_add_f32_e32 v247, v102, v118
	v_mov_b32_e32 v102, v99
	v_add_f32_e32 v99, v80, v97
	v_fma_f32 v97, v89, s14, -v107
	v_mul_f32_e32 v109, 0xbf68dda4, v115
	v_add_f32_e32 v122, v122, v213
	v_fmac_f32_e32 v104, 0xbf27a4f4, v98
	v_add_f32_e32 v101, v81, v97
	v_mov_b32_e32 v97, v109
	v_add_f32_e32 v119, v119, v122
	v_add_f32_e32 v240, v104, v121
	v_mov_b32_e32 v104, v103
	v_fmac_f32_e32 v102, 0xbe11bafb, v98
	v_mul_f32_e32 v112, 0xbf68dda4, v214
	v_fmac_f32_e32 v97, 0x3ed4b147, v88
	v_sub_f32_e32 v118, v212, v95
	v_fmac_f32_e32 v104, 0x3ed4b147, v98
	v_add_f32_e32 v248, v102, v119
	v_add_f32_e32 v102, v80, v97
	v_fma_f32 v97, v89, s15, -v112
	v_mul_f32_e32 v108, 0xbf68dda4, v118
	v_fmac_f32_e32 v110, 0xbf75a155, v98
	v_add_f32_e32 v244, v104, v123
	v_add_f32_e32 v103, v81, v97
	;; [unrolled: 1-line block ×3, first 2 shown]
	v_sub_f32_e32 v220, v83, v85
	v_mov_b32_e32 v104, v108
	v_add_f32_e32 v232, v110, v113
	v_add_f32_e32 v98, v212, v95
	v_mul_f32_e32 v110, 0xbf68dda4, v220
	v_fmac_f32_e32 v104, 0x3ed4b147, v97
	v_add_f32_e32 v104, v104, v99
	v_fma_f32 v99, v98, s15, -v110
	v_mul_f32_e32 v113, 0xbf4178ce, v118
	v_add_f32_e32 v106, v99, v101
	v_mov_b32_e32 v99, v113
	v_mul_f32_e32 v117, 0xbf4178ce, v220
	v_fmac_f32_e32 v99, 0xbf27a4f4, v97
	v_sub_f32_e32 v217, v207, v94
	v_add_f32_e32 v102, v99, v102
	v_fma_f32 v99, v98, s18, -v117
	v_mul_f32_e32 v111, 0xbf7d64f0, v217
	v_add_f32_e32 v103, v99, v103
	v_add_f32_e32 v99, v86, v84
	v_sub_f32_e32 v223, v86, v84
	v_mov_b32_e32 v116, v111
	v_add_f32_e32 v101, v207, v94
	v_mul_f32_e32 v114, 0xbf7d64f0, v223
	v_fmac_f32_e32 v116, 0xbe11bafb, v99
	v_add_f32_e32 v104, v116, v104
	v_fma_f32 v116, v101, s16, -v114
	v_mul_f32_e32 v119, 0x3e903f40, v217
	v_add_f32_e32 v106, v116, v106
	v_mov_b32_e32 v116, v119
	v_mul_f32_e32 v216, 0x3e903f40, v223
	v_fmac_f32_e32 v116, 0xbf75a155, v99
	v_sub_f32_e32 v222, v208, v93
	v_add_f32_e32 v120, v116, v102
	v_fma_f32 v102, v101, s19, -v216
	v_mul_f32_e32 v116, 0xbf4178ce, v222
	v_add_f32_e32 v121, v102, v103
	v_add_f32_e32 v102, v87, v82
	v_sub_f32_e32 v227, v87, v82
	v_mov_b32_e32 v122, v116
	;; [unrolled: 18-line block ×3, first 2 shown]
	v_add_f32_e32 v106, v209, v210
	v_mul_f32_e32 v219, 0xbe903f40, v228
	v_fmac_f32_e32 v120, 0xbf75a155, v104
	v_mul_f32_e32 v224, 0x3f0a6770, v226
	v_add_f32_e32 v120, v120, v122
	v_fma_f32 v121, v106, s19, -v219
	v_mul_f32_e32 v225, 0x3f0a6770, v228
	v_mov_b32_e32 v122, v224
	v_add_f32_e32 v121, v121, v123
	v_fmac_f32_e32 v122, 0x3f575c64, v104
	v_fma_f32 v123, v106, s14, -v225
	v_add_f32_e32 v122, v122, v251
	v_add_f32_e32 v123, v123, v252
	ds_write2_b64 v169, v[229:230], v[231:232] offset1:84
	ds_write2_b64 v169, v[235:236], v[239:240] offset0:168 offset1:252
	ds_write2_b64 v205, v[243:244], v[247:248] offset0:80 offset1:164
	;; [unrolled: 1-line block ×4, first 2 shown]
	ds_write_b64 v169, v[233:234] offset:6720
	s_and_saveexec_b64 s[4:5], s[2:3]
	s_cbranch_execz .LBB0_15
; %bb.14:
	v_mul_f32_e32 v231, 0xbf27a4f4, v89
	v_mov_b32_e32 v204, v231
	v_mul_f32_e32 v232, 0xbe11bafb, v98
	v_fmac_f32_e32 v204, 0x3f4178ce, v214
	v_mov_b32_e32 v205, v232
	v_add_f32_e32 v204, v81, v204
	v_fmac_f32_e32 v205, 0xbf7d64f0, v220
	v_mul_f32_e32 v252, 0x3f575c64, v101
	v_add_f32_e32 v204, v205, v204
	v_mov_b32_e32 v205, v252
	v_fmac_f32_e32 v205, 0x3f0a6770, v223
	buffer_store_dword v82, off, s[20:23], 0 offset:40 ; 4-byte Folded Spill
	v_mov_b32_e32 v82, v253
	v_mul_f32_e32 v253, 0xbf75a155, v103
	v_add_f32_e32 v204, v205, v204
	v_mov_b32_e32 v205, v253
	v_fmac_f32_e32 v205, 0x3e903f40, v227
	v_mov_b32_e32 v237, v90
	v_mov_b32_e32 v90, v254
	v_mul_f32_e32 v254, 0x3ed4b147, v106
	v_add_f32_e32 v204, v205, v204
	v_mov_b32_e32 v205, v254
	v_fmac_f32_e32 v205, 0xbf68dda4, v228
	v_mov_b32_e32 v236, v83
	v_mov_b32_e32 v83, v255
	v_mul_f32_e32 v255, 0xbf4178ce, v115
	v_add_f32_e32 v205, v205, v204
	v_mov_b32_e32 v204, v255
	v_mul_f32_e32 v178, 0x3f7d64f0, v118
	v_fmac_f32_e32 v204, 0xbf27a4f4, v88
	v_mov_b32_e32 v229, v178
	buffer_store_dword v92, off, s[20:23], 0 offset:36 ; 4-byte Folded Spill
	v_add_f32_e32 v204, v80, v204
	v_fmac_f32_e32 v229, 0xbe11bafb, v97
	buffer_store_dword v200, off, s[20:23], 0 offset:28 ; 4-byte Folded Spill
	buffer_store_dword v188, off, s[20:23], 0 offset:32 ; 4-byte Folded Spill
	v_mul_f32_e32 v188, 0xbf0a6770, v217
	v_add_f32_e32 v204, v229, v204
	v_mov_b32_e32 v229, v188
	v_fmac_f32_e32 v229, 0x3f575c64, v99
	v_mul_f32_e32 v172, 0xbe903f40, v222
	v_add_f32_e32 v204, v229, v204
	v_mov_b32_e32 v229, v172
	v_fmac_f32_e32 v229, 0xbf75a155, v102
	;; [unrolled: 4-line block ×3, first 2 shown]
	v_mul_f32_e32 v174, 0xbe903f40, v214
	v_add_f32_e32 v204, v229, v204
	v_mov_b32_e32 v229, v174
	v_mul_f32_e32 v175, 0x3f0a6770, v220
	v_fmac_f32_e32 v229, 0xbf75a155, v89
	v_mov_b32_e32 v230, v175
	v_add_f32_e32 v229, v81, v229
	v_fmac_f32_e32 v230, 0x3f575c64, v98
	v_mul_f32_e32 v176, 0xbf4178ce, v223
	v_add_f32_e32 v229, v230, v229
	v_mov_b32_e32 v230, v176
	v_fmac_f32_e32 v230, 0xbf27a4f4, v101
	v_mul_f32_e32 v177, 0x3f68dda4, v227
	v_add_f32_e32 v229, v230, v229
	v_mov_b32_e32 v230, v177
	;; [unrolled: 4-line block ×3, first 2 shown]
	v_fmac_f32_e32 v230, 0xbe11bafb, v106
	v_mov_b32_e32 v203, v198
	v_mov_b32_e32 v198, v193
	;; [unrolled: 1-line block ×4, first 2 shown]
	v_mul_f32_e32 v180, 0xbe903f40, v115
	v_add_f32_e32 v230, v230, v229
	v_fma_f32 v229, v88, s19, -v180
	v_mov_b32_e32 v206, v194
	v_mov_b32_e32 v194, v187
	;; [unrolled: 1-line block ×3, first 2 shown]
	v_mul_f32_e32 v181, 0x3f0a6770, v118
	v_add_f32_e32 v229, v80, v229
	v_mov_b32_e32 v233, v182
	v_fma_f32 v182, v97, s14, -v181
	v_mul_f32_e32 v183, 0xbf4178ce, v217
	v_mov_b32_e32 v234, v166
	v_add_f32_e32 v182, v182, v229
	v_fma_f32 v229, v99, s18, -v183
	v_mov_b32_e32 v166, v184
	v_mul_f32_e32 v184, 0x3f68dda4, v222
	v_add_f32_e32 v182, v229, v182
	v_mov_b32_e32 v200, v85
	v_fma_f32 v229, v102, s15, -v184
	v_mov_b32_e32 v85, v185
	v_mul_f32_e32 v185, 0xbf7d64f0, v226
	v_add_f32_e32 v182, v229, v182
	v_fma_f32 v229, v104, s16, -v185
	v_fmac_f32_e32 v231, 0xbf4178ce, v214
	v_add_f32_e32 v229, v229, v182
	v_add_f32_e32 v182, v81, v231
	v_fmac_f32_e32 v232, 0x3f7d64f0, v220
	v_add_f32_e32 v182, v232, v182
	v_fmac_f32_e32 v252, 0xbf0a6770, v223
	;; [unrolled: 2-line block ×4, first 2 shown]
	v_add_f32_e32 v232, v254, v182
	v_fma_f32 v182, v88, s18, -v255
	v_add_f32_e32 v182, v80, v182
	v_fma_f32 v178, v97, s16, -v178
	;; [unrolled: 2-line block ×5, first 2 shown]
	v_add_f32_e32 v231, v173, v172
	v_mul_f32_e32 v172, 0xbf7d64f0, v214
	v_mov_b32_e32 v173, v172
	v_mul_f32_e32 v178, 0x3e903f40, v220
	v_fmac_f32_e32 v173, 0xbe11bafb, v89
	v_mov_b32_e32 v182, v178
	v_add_f32_e32 v173, v81, v173
	v_fmac_f32_e32 v182, 0xbf75a155, v98
	v_add_f32_e32 v173, v182, v173
	v_mul_f32_e32 v182, 0x3f68dda4, v223
	v_mov_b32_e32 v188, v182
	v_fmac_f32_e32 v188, 0x3ed4b147, v101
	v_add_f32_e32 v173, v188, v173
	v_mul_f32_e32 v188, 0xbf0a6770, v227
	v_mov_b32_e32 v214, v188
	;; [unrolled: 4-line block ×3, first 2 shown]
	v_fmac_f32_e32 v220, 0xbf27a4f4, v106
	v_mul_f32_e32 v115, 0xbf7d64f0, v115
	v_add_f32_e32 v223, v220, v173
	v_fma_f32 v173, v88, s16, -v115
	v_mul_f32_e32 v220, 0x3e903f40, v118
	v_mul_f32_e32 v235, 0x3ed4b147, v89
	v_add_f32_e32 v173, v80, v173
	v_fma_f32 v118, v97, s19, -v220
	v_mul_f32_e32 v239, 0xbf27a4f4, v98
	v_add_f32_e32 v118, v118, v173
	v_mul_f32_e32 v173, 0x3f68dda4, v217
	v_add_f32_e32 v112, v112, v235
	v_mul_f32_e32 v243, 0xbf75a155, v101
	v_fma_f32 v217, v99, s15, -v173
	v_add_f32_e32 v112, v81, v112
	v_add_f32_e32 v117, v117, v239
	v_mul_f32_e32 v247, 0xbe11bafb, v103
	v_add_f32_e32 v118, v217, v118
	v_mul_f32_e32 v217, 0xbf0a6770, v222
	v_add_f32_e32 v112, v117, v112
	v_add_f32_e32 v117, v216, v243
	v_mul_f32_e32 v92, 0x3ed4b147, v88
	v_mul_f32_e32 v251, 0x3f575c64, v106
	v_fma_f32 v222, v102, s14, -v217
	v_mul_f32_e32 v226, 0xbf4178ce, v226
	v_add_f32_e32 v112, v117, v112
	v_add_f32_e32 v117, v221, v247
	v_mul_f32_e32 v238, 0xbf27a4f4, v97
	v_add_f32_e32 v118, v222, v118
	v_fma_f32 v222, v104, s18, -v226
	v_add_f32_e32 v112, v117, v112
	v_add_f32_e32 v117, v225, v251
	v_sub_f32_e32 v109, v92, v109
	v_mul_f32_e32 v242, 0xbf75a155, v99
	v_add_f32_e32 v222, v222, v118
	v_add_f32_e32 v118, v117, v112
	;; [unrolled: 1-line block ×3, first 2 shown]
	v_sub_f32_e32 v112, v238, v113
	v_mul_f32_e32 v246, 0xbe11bafb, v102
	v_add_f32_e32 v109, v112, v109
	v_sub_f32_e32 v112, v242, v119
	v_mul_f32_e32 v244, 0x3f575c64, v89
	v_mul_f32_e32 v250, 0x3f575c64, v104
	v_add_f32_e32 v109, v112, v109
	v_sub_f32_e32 v112, v246, v218
	v_mul_f32_e32 v240, 0x3ed4b147, v98
	v_add_f32_e32 v109, v112, v109
	v_sub_f32_e32 v112, v250, v224
	v_add_f32_e32 v107, v107, v244
	v_mul_f32_e32 v241, 0xbe11bafb, v101
	v_add_f32_e32 v117, v112, v109
	v_add_f32_e32 v107, v81, v107
	;; [unrolled: 1-line block ×3, first 2 shown]
	v_mul_f32_e32 v245, 0xbf27a4f4, v103
	v_add_f32_e32 v107, v109, v107
	v_add_f32_e32 v109, v114, v241
	v_mul_f32_e32 v249, 0xbf75a155, v106
	v_mov_b32_e32 v253, v82
	v_add_f32_e32 v107, v109, v107
	v_add_f32_e32 v109, v213, v245
	v_mul_f32_e32 v82, 0x3f575c64, v88
	v_add_f32_e32 v107, v109, v107
	v_add_f32_e32 v109, v219, v249
	v_sub_f32_e32 v105, v82, v105
	v_mul_f32_e32 v82, 0x3ed4b147, v97
	v_add_f32_e32 v109, v109, v107
	v_add_f32_e32 v105, v80, v105
	v_sub_f32_e32 v107, v82, v108
	v_mul_f32_e32 v82, 0xbe11bafb, v99
	v_add_f32_e32 v105, v107, v105
	v_sub_f32_e32 v107, v82, v111
	v_mul_f32_e32 v82, 0xbf27a4f4, v102
	v_add_f32_e32 v105, v107, v105
	v_sub_f32_e32 v107, v82, v116
	buffer_load_dword v82, off, s[20:23], 0 offset:36 ; 4-byte Folded Reload
	v_mov_b32_e32 v254, v90
	v_add_f32_e32 v90, v80, v237
	v_mov_b32_e32 v255, v83
	v_add_f32_e32 v83, v90, v236
	v_add_f32_e32 v83, v83, v86
	;; [unrolled: 1-line block ×4, first 2 shown]
	v_mul_f32_e32 v248, 0xbf75a155, v104
	v_add_f32_e32 v105, v107, v105
	v_sub_f32_e32 v107, v248, v215
	v_add_f32_e32 v108, v107, v105
	v_add_f32_e32 v105, v81, v211
	;; [unrolled: 1-line block ×8, first 2 shown]
	v_fmac_f32_e32 v180, 0xbf75a155, v88
	v_add_f32_e32 v93, v93, v94
	v_fmac_f32_e32 v181, 0x3f575c64, v97
	v_fmac_f32_e32 v115, 0xbe11bafb, v88
	v_add_f32_e32 v93, v93, v95
	v_fmac_f32_e32 v183, 0xbf27a4f4, v99
	;; [unrolled: 3-line block ×3, first 2 shown]
	v_fmac_f32_e32 v173, 0x3ed4b147, v99
	v_fmac_f32_e32 v185, 0xbe11bafb, v104
	;; [unrolled: 1-line block ×4, first 2 shown]
	s_waitcnt vmcnt(0)
	v_add_f32_e32 v83, v83, v82
	buffer_load_dword v82, off, s[20:23], 0 offset:40 ; 4-byte Folded Reload
	s_waitcnt vmcnt(0)
	v_add_f32_e32 v82, v83, v82
	v_add_f32_e32 v82, v82, v84
	v_add_f32_e32 v82, v82, v200
	v_add_f32_e32 v92, v82, v91
	v_fma_f32 v82, v89, s19, -v174
	v_fma_f32 v84, v89, s16, -v172
	v_add_f32_e32 v82, v81, v82
	v_add_f32_e32 v81, v81, v84
	v_fma_f32 v84, v98, s19, -v178
	v_add_f32_e32 v81, v84, v81
	v_fma_f32 v84, v101, s15, -v182
	;; [unrolled: 2-line block ×3, first 2 shown]
	buffer_load_dword v188, off, s[20:23], 0 offset:32 ; 4-byte Folded Reload
	buffer_load_dword v200, off, s[20:23], 0 offset:28 ; 4-byte Folded Reload
	v_fma_f32 v83, v98, s14, -v175
	v_add_f32_e32 v82, v83, v82
	v_fma_f32 v83, v101, s18, -v176
	v_add_f32_e32 v82, v83, v82
	;; [unrolled: 2-line block ×4, first 2 shown]
	v_add_f32_e32 v82, v80, v180
	v_add_f32_e32 v82, v181, v82
	;; [unrolled: 1-line block ×3, first 2 shown]
	v_fma_f32 v84, v106, s18, -v214
	v_add_f32_e32 v80, v80, v115
	v_add_f32_e32 v82, v183, v82
	v_add_f32_e32 v81, v84, v81
	v_add_f32_e32 v80, v220, v80
	v_add_u32_e32 v84, 0x400, v169
	v_add_f32_e32 v82, v184, v82
	v_add_f32_e32 v80, v173, v80
	ds_write2_b64 v169, v[92:93], v[108:109] offset0:44 offset1:128
	ds_write2_b64 v84, v[117:118], v[222:223] offset0:84 offset1:168
	v_add_u32_e32 v84, 0x800, v169
	v_add_f32_e32 v82, v185, v82
	v_add_f32_e32 v80, v217, v80
	ds_write2_b64 v84, v[231:232], v[229:230] offset0:124 offset1:208
	v_add_u32_e32 v84, 0x1000, v169
	v_mov_b32_e32 v180, v186
	v_mov_b32_e32 v186, v193
	;; [unrolled: 1-line block ×11, first 2 shown]
	v_add_f32_e32 v80, v226, v80
	ds_write2_b64 v84, v[82:83], v[204:205] offset0:36 offset1:120
	v_add_u32_e32 v82, 0x1400, v169
	ds_write2_b64 v82, v[80:81], v[122:123] offset0:76 offset1:160
	ds_write_b64 v169, v[120:121] offset:7072
.LBB0_15:
	s_or_b64 exec, exec, s[4:5]
	v_mov_b32_e32 v80, s17
	v_addc_co_u32_e64 v84, vcc, 0, v80, s[6:7]
	v_add_co_u32_e32 v80, vcc, 0x1ce0, v124
	s_mov_b64 s[4:5], vcc
	v_add_co_u32_e32 v81, vcc, 0x1000, v124
	v_addc_co_u32_e32 v82, vcc, 0, v84, vcc
	s_waitcnt lgkmcnt(0)
	; wave barrier
	s_waitcnt lgkmcnt(0)
	global_load_dwordx2 v[88:89], v[81:82], off offset:3296
	v_addc_co_u32_e64 v81, vcc, 0, v84, s[4:5]
	global_load_dwordx2 v[90:91], v[80:81], off offset:352
	global_load_dwordx2 v[104:105], v[80:81], off offset:3696
	;; [unrolled: 1-line block ×4, first 2 shown]
	s_movk_i32 s4, 0x2000
	v_add_co_u32_e32 v82, vcc, s4, v124
	v_addc_co_u32_e32 v83, vcc, 0, v84, vcc
	global_load_dwordx2 v[110:111], v[82:83], off offset:3600
	global_load_dwordx2 v[112:113], v[80:81], off offset:1056
	;; [unrolled: 1-line block ×4, first 2 shown]
	s_movk_i32 s4, 0x3000
	v_add_co_u32_e32 v92, vcc, s4, v124
	v_addc_co_u32_e32 v93, vcc, 0, v84, vcc
	global_load_dwordx2 v[118:119], v[92:93], off offset:208
	global_load_dwordx2 v[204:205], v[80:81], off offset:1760
	;; [unrolled: 1-line block ×6, first 2 shown]
	ds_read2_b64 v[84:87], v169 offset1:44
	global_load_dwordx2 v[214:215], v[80:81], off offset:2816
	global_load_dwordx2 v[216:217], v[80:81], off offset:3168
	;; [unrolled: 1-line block ×5, first 2 shown]
	v_add_u32_e32 v82, 0x800, v169
	v_add_u32_e32 v83, 0x1000, v169
	;; [unrolled: 1-line block ×3, first 2 shown]
	s_waitcnt vmcnt(18) lgkmcnt(0)
	v_mul_f32_e32 v225, v86, v91
	v_mul_f32_e32 v93, v85, v89
	v_mul_f32_e32 v92, v84, v89
	v_mul_f32_e32 v89, v87, v91
	v_fma_f32 v91, v84, v88, -v93
	v_fmac_f32_e32 v92, v85, v88
	ds_write_b64 v169, v[91:92]
	v_fma_f32 v224, v86, v90, -v89
	v_fmac_f32_e32 v225, v87, v90
	ds_read2_b64 v[84:87], v82 offset0:206 offset1:250
	ds_read2_b64 v[88:91], v169 offset0:88 offset1:132
	;; [unrolled: 1-line block ×5, first 2 shown]
	s_waitcnt vmcnt(17) lgkmcnt(4)
	v_mul_f32_e32 v173, v85, v105
	v_mul_f32_e32 v227, v84, v105
	s_waitcnt vmcnt(16)
	v_mul_f32_e32 v174, v87, v107
	v_mul_f32_e32 v105, v86, v107
	s_waitcnt vmcnt(15) lgkmcnt(3)
	v_mul_f32_e32 v175, v89, v109
	v_mul_f32_e32 v107, v88, v109
	s_waitcnt vmcnt(14) lgkmcnt(2)
	v_mul_f32_e32 v176, v93, v111
	v_mul_f32_e32 v109, v92, v111
	s_waitcnt vmcnt(13)
	v_mul_f32_e32 v177, v91, v113
	v_mul_f32_e32 v111, v90, v113
	s_waitcnt vmcnt(12)
	v_mul_f32_e32 v178, v95, v115
	v_mul_f32_e32 v113, v94, v115
	v_fma_f32 v226, v84, v104, -v173
	v_fmac_f32_e32 v227, v85, v104
	s_waitcnt vmcnt(10) lgkmcnt(0)
	v_mul_f32_e32 v84, v101, v119
	v_mul_f32_e32 v85, v100, v119
	v_mul_f32_e32 v179, v97, v117
	v_mul_f32_e32 v115, v96, v117
	v_fma_f32 v104, v86, v106, -v174
	v_fmac_f32_e32 v105, v87, v106
	v_fma_f32 v106, v88, v108, -v175
	v_fmac_f32_e32 v107, v89, v108
	;; [unrolled: 2-line block ×7, first 2 shown]
	ds_write2_b64 v169, v[224:225], v[106:107] offset0:44 offset1:88
	ds_write2_b64 v172, v[104:105], v[108:109] offset0:122 offset1:166
	;; [unrolled: 1-line block ×4, first 2 shown]
	s_waitcnt vmcnt(9)
	v_mul_f32_e32 v84, v99, v205
	v_fma_f32 v93, v98, v204, -v84
	ds_read2_b64 v[84:87], v82 offset0:8 offset1:52
	s_waitcnt vmcnt(8)
	v_mul_f32_e32 v88, v103, v207
	v_fma_f32 v95, v102, v206, -v88
	v_add_u32_e32 v92, 0x1400, v169
	v_mul_f32_e32 v94, v98, v205
	s_waitcnt vmcnt(7) lgkmcnt(0)
	v_mul_f32_e32 v88, v85, v209
	v_fma_f32 v97, v84, v208, -v88
	ds_read2_b64 v[88:91], v92 offset0:86 offset1:130
	v_mul_f32_e32 v98, v84, v209
	v_fmac_f32_e32 v94, v99, v204
	v_fmac_f32_e32 v98, v85, v208
	v_add_u32_e32 v84, 0x400, v169
	v_mul_f32_e32 v96, v102, v207
	ds_write2_b64 v84, v[93:94], v[97:98] offset0:92 offset1:136
	s_waitcnt vmcnt(6) lgkmcnt(1)
	v_mul_f32_e32 v84, v89, v211
	v_mul_f32_e32 v85, v88, v211
	v_fmac_f32_e32 v96, v103, v206
	v_fma_f32 v84, v88, v210, -v84
	v_fmac_f32_e32 v85, v89, v210
	ds_write2_b64 v83, v[95:96], v[84:85] offset0:170 offset1:214
	s_waitcnt vmcnt(5)
	v_mul_f32_e32 v84, v87, v213
	v_mul_f32_e32 v95, v86, v213
	v_fma_f32 v94, v86, v212, -v84
	v_fmac_f32_e32 v95, v87, v212
	ds_read2_b64 v[84:87], v82 offset0:96 offset1:140
	s_waitcnt vmcnt(2)
	v_mul_f32_e32 v88, v91, v219
	v_mul_f32_e32 v97, v90, v219
	v_add_u32_e32 v93, 0x1800, v169
	v_fma_f32 v96, v90, v218, -v88
	v_fmac_f32_e32 v97, v91, v218
	ds_read2_b64 v[88:91], v93 offset0:46 offset1:90
	s_waitcnt lgkmcnt(1)
	v_mul_f32_e32 v98, v85, v215
	v_mul_f32_e32 v99, v84, v215
	v_fma_f32 v98, v84, v214, -v98
	v_fmac_f32_e32 v99, v85, v214
	s_waitcnt vmcnt(1) lgkmcnt(0)
	v_mul_f32_e32 v84, v89, v221
	v_mul_f32_e32 v85, v88, v221
	v_fma_f32 v84, v88, v220, -v84
	v_fmac_f32_e32 v85, v89, v220
	ds_write2_b64 v93, v[96:97], v[84:85] offset0:2 offset1:46
	v_mul_f32_e32 v84, v87, v217
	v_mul_f32_e32 v85, v86, v217
	v_fma_f32 v84, v86, v216, -v84
	v_fmac_f32_e32 v85, v87, v216
	ds_write2_b64 v82, v[84:85], v[226:227] offset0:140 offset1:206
	s_waitcnt vmcnt(0)
	v_mul_f32_e32 v84, v91, v223
	v_mul_f32_e32 v85, v90, v223
	v_fma_f32 v84, v90, v222, -v84
	v_fmac_f32_e32 v85, v91, v222
	ds_write2_b64 v82, v[94:95], v[98:99] offset0:52 offset1:96
	ds_write_b64 v169, v[84:85] offset:6864
	s_and_saveexec_b64 s[4:5], s[0:1]
	s_cbranch_execz .LBB0_17
; %bb.16:
	global_load_dwordx2 v[84:85], v[80:81], off offset:3520
	v_add_co_u32_e32 v80, vcc, 0x1000, v80
	v_addc_co_u32_e32 v81, vcc, 0, v81, vcc
	global_load_dwordx2 v[80:81], v[80:81], off offset:3120
	ds_read_b64 v[86:87], v169 offset:3520
	ds_read_b64 v[88:89], v169 offset:7216
	s_waitcnt vmcnt(1) lgkmcnt(1)
	v_mul_f32_e32 v90, v87, v85
	v_mul_f32_e32 v91, v86, v85
	v_fma_f32 v90, v86, v84, -v90
	v_fmac_f32_e32 v91, v87, v84
	ds_write_b64 v169, v[90:91] offset:3520
	s_waitcnt vmcnt(0) lgkmcnt(1)
	v_mul_f32_e32 v84, v89, v81
	v_mul_f32_e32 v85, v88, v81
	v_fma_f32 v84, v88, v80, -v84
	v_fmac_f32_e32 v85, v89, v80
	ds_write_b64 v169, v[84:85] offset:7216
.LBB0_17:
	s_or_b64 exec, exec, s[4:5]
	s_waitcnt lgkmcnt(0)
	; wave barrier
	s_waitcnt lgkmcnt(0)
	ds_read2_b64 v[104:107], v169 offset1:44
	ds_read2_b64 v[116:119], v82 offset0:206 offset1:250
	ds_read2_b64 v[96:99], v169 offset0:88 offset1:132
	;; [unrolled: 1-line block ×9, first 2 shown]
	v_lshlrev_b32_e32 v204, 3, v191
	v_lshlrev_b32_e32 v192, 3, v192
	;; [unrolled: 1-line block ×3, first 2 shown]
	s_and_saveexec_b64 s[4:5], s[0:1]
	s_cbranch_execz .LBB0_19
; %bb.18:
	ds_read_b64 v[122:123], v169 offset:3520
	ds_read_b64 v[120:121], v169 offset:7216
.LBB0_19:
	s_or_b64 exec, exec, s[4:5]
	s_waitcnt lgkmcnt(8)
	v_sub_f32_e32 v207, v104, v116
	v_sub_f32_e32 v208, v105, v117
	v_sub_f32_e32 v118, v106, v118
	v_sub_f32_e32 v119, v107, v119
	v_fma_f32 v205, v104, 2.0, -v207
	v_fma_f32 v206, v105, 2.0, -v208
	v_fma_f32 v116, v106, 2.0, -v118
	v_fma_f32 v117, v107, 2.0, -v119
	s_waitcnt lgkmcnt(6)
	v_sub_f32_e32 v106, v96, v112
	v_sub_f32_e32 v107, v97, v113
	v_fma_f32 v104, v96, 2.0, -v106
	v_fma_f32 v105, v97, 2.0, -v107
	s_waitcnt lgkmcnt(0)
	; wave barrier
	s_waitcnt lgkmcnt(0)
	ds_write_b128 v180, v[205:208]
	ds_write_b128 v181, v[116:119]
	;; [unrolled: 1-line block ×3, first 2 shown]
	buffer_load_dword v104, off, s[20:23], 0 offset:20 ; 4-byte Folded Reload
	v_sub_f32_e32 v114, v98, v114
	v_sub_f32_e32 v115, v99, v115
	;; [unrolled: 1-line block ×8, first 2 shown]
	v_fma_f32 v112, v98, 2.0, -v114
	v_fma_f32 v113, v99, 2.0, -v115
	v_sub_f32_e32 v98, v88, v108
	v_sub_f32_e32 v99, v89, v109
	v_fma_f32 v108, v90, 2.0, -v110
	v_fma_f32 v109, v91, 2.0, -v111
	v_sub_f32_e32 v90, v84, v100
	v_sub_f32_e32 v91, v85, v101
	;; [unrolled: 4-line block ×4, first 2 shown]
	v_fma_f32 v96, v88, 2.0, -v98
	v_fma_f32 v97, v89, 2.0, -v99
	;; [unrolled: 1-line block ×8, first 2 shown]
	s_waitcnt vmcnt(0)
	ds_write_b128 v104, v[112:115]
	ds_write_b128 v184, v[96:99]
	;; [unrolled: 1-line block ×7, first 2 shown]
	s_and_saveexec_b64 s[4:5], s[0:1]
	s_cbranch_execz .LBB0_21
; %bb.20:
	ds_write_b128 v186, v[80:83]
.LBB0_21:
	s_or_b64 exec, exec, s[4:5]
	v_add_u32_e32 v84, 0x800, v169
	v_add_u32_e32 v85, 0x1000, v169
	s_waitcnt lgkmcnt(0)
	; wave barrier
	s_waitcnt lgkmcnt(0)
	ds_read2_b64 v[100:103], v169 offset1:44
	ds_read2_b64 v[120:123], v84 offset0:206 offset1:250
	ds_read2_b64 v[96:99], v169 offset0:88 offset1:132
	;; [unrolled: 1-line block ×6, first 2 shown]
	v_add_u32_e32 v85, 0x1400, v169
	v_add_u32_e32 v104, 0x1800, v169
	ds_read2_b64 v[108:111], v85 offset0:86 offset1:130
	ds_read2_b64 v[84:87], v84 offset0:96 offset1:140
	;; [unrolled: 1-line block ×3, first 2 shown]
	s_and_saveexec_b64 s[4:5], s[0:1]
	s_cbranch_execz .LBB0_23
; %bb.22:
	ds_read_b64 v[80:81], v169 offset:3520
	ds_read_b64 v[82:83], v169 offset:7216
.LBB0_23:
	s_or_b64 exec, exec, s[4:5]
	s_waitcnt lgkmcnt(8)
	v_mul_f32_e32 v172, v168, v121
	v_fmac_f32_e32 v172, v167, v120
	v_mul_f32_e32 v120, v168, v120
	s_waitcnt lgkmcnt(0)
	v_mul_f32_e32 v178, v168, v105
	v_fma_f32 v120, v167, v121, -v120
	v_mul_f32_e32 v121, v168, v123
	v_fmac_f32_e32 v178, v167, v104
	v_mul_f32_e32 v104, v168, v104
	v_fmac_f32_e32 v121, v167, v122
	v_mul_f32_e32 v122, v168, v122
	v_fma_f32 v179, v167, v105, -v104
	v_mul_f32_e32 v104, v168, v106
	v_fma_f32 v122, v167, v123, -v122
	;; [unrolled: 2-line block ×3, first 2 shown]
	v_sub_f32_e32 v104, v100, v172
	v_sub_f32_e32 v105, v101, v120
	v_fmac_f32_e32 v180, v167, v106
	v_fma_f32 v100, v100, 2.0, -v104
	v_fma_f32 v101, v101, 2.0, -v105
	v_sub_f32_e32 v106, v102, v121
	v_sub_f32_e32 v107, v103, v122
	v_fma_f32 v102, v102, 2.0, -v106
	v_fma_f32 v103, v103, 2.0, -v107
	s_waitcnt lgkmcnt(0)
	; wave barrier
	ds_write2_b64 v188, v[100:101], v[104:105] offset1:2
	ds_write2_b64 v166, v[102:103], v[106:107] offset1:2
	buffer_load_dword v100, off, s[20:23], 0 offset:24 ; 4-byte Folded Reload
	v_mul_f32_e32 v123, v168, v117
	v_fmac_f32_e32 v123, v167, v116
	v_mul_f32_e32 v116, v168, v116
	v_fma_f32 v116, v167, v117, -v116
	v_mul_f32_e32 v117, v168, v119
	v_fmac_f32_e32 v117, v167, v118
	v_mul_f32_e32 v118, v168, v118
	v_fma_f32 v118, v167, v119, -v118
	v_mul_f32_e32 v119, v168, v113
	v_mul_f32_e32 v174, v168, v109
	v_fmac_f32_e32 v119, v167, v112
	v_mul_f32_e32 v112, v168, v112
	v_fmac_f32_e32 v174, v167, v108
	v_mul_f32_e32 v108, v168, v108
	v_mul_f32_e32 v182, v168, v83
	v_fma_f32 v113, v167, v113, -v112
	v_mul_f32_e32 v173, v168, v115
	v_mul_f32_e32 v112, v168, v114
	v_fma_f32 v175, v167, v109, -v108
	v_mul_f32_e32 v176, v168, v111
	v_mul_f32_e32 v108, v168, v110
	v_fmac_f32_e32 v182, v167, v82
	v_mul_f32_e32 v82, v168, v82
	v_fmac_f32_e32 v173, v167, v114
	v_fma_f32 v115, v167, v115, -v112
	v_fmac_f32_e32 v176, v167, v110
	v_fma_f32 v177, v167, v111, -v108
	v_fma_f32 v83, v167, v83, -v82
	v_sub_f32_e32 v108, v96, v123
	v_sub_f32_e32 v109, v97, v116
	v_fma_f32 v96, v96, 2.0, -v108
	v_fma_f32 v97, v97, 2.0, -v109
	v_sub_f32_e32 v110, v98, v117
	v_sub_f32_e32 v111, v99, v118
	;; [unrolled: 1-line block ×16, first 2 shown]
	v_fma_f32 v98, v98, 2.0, -v110
	v_fma_f32 v99, v99, 2.0, -v111
	;; [unrolled: 1-line block ×14, first 2 shown]
	s_waitcnt vmcnt(0)
	ds_write2_b64 v100, v[96:97], v[108:109] offset1:2
	ds_write2_b64 v193, v[98:99], v[110:111] offset1:2
	ds_write2_b64 v194, v[92:93], v[112:113] offset1:2
	ds_write2_b64 v200, v[94:95], v[114:115] offset1:2
	ds_write2_b64 v196, v[88:89], v[116:117] offset1:2
	ds_write2_b64 v190, v[90:91], v[118:119] offset1:2
	ds_write2_b64 v199, v[84:85], v[120:121] offset1:2
	ds_write2_b64 v201, v[86:87], v[122:123] offset1:2
	s_and_saveexec_b64 s[4:5], s[0:1]
	s_cbranch_execz .LBB0_25
; %bb.24:
	s_movk_i32 s6, 0x3fc
	v_and_or_b32 v84, v198, s6, v171
	v_fma_f32 v81, v81, 2.0, -v83
	v_fma_f32 v80, v80, 2.0, -v82
	v_lshlrev_b32_e32 v84, 3, v84
	ds_write2_b64 v84, v[80:81], v[82:83] offset1:2
.LBB0_25:
	s_or_b64 exec, exec, s[4:5]
	v_add_u32_e32 v85, 0x800, v169
	s_waitcnt lgkmcnt(0)
	; wave barrier
	s_waitcnt lgkmcnt(0)
	ds_read2_b64 v[90:93], v85 offset0:8 offset1:52
	v_add_u32_e32 v84, 0x1000, v169
	ds_read2_b64 v[86:89], v169 offset1:44
	ds_read2_b64 v[94:97], v84 offset0:104 offset1:148
	ds_read2_b64 v[98:101], v85 offset0:96 offset1:140
	;; [unrolled: 1-line block ×6, first 2 shown]
	s_waitcnt lgkmcnt(4)
	v_mul_f32_e32 v167, v21, v101
	v_mul_f32_e32 v123, v21, v93
	v_fmac_f32_e32 v123, v20, v92
	v_mul_f32_e32 v92, v21, v92
	v_fma_f32 v92, v20, v93, -v92
	v_mul_f32_e32 v93, v23, v95
	v_fmac_f32_e32 v93, v22, v94
	v_mul_f32_e32 v94, v23, v94
	v_fma_f32 v94, v22, v95, -v94
	;; [unrolled: 4-line block ×3, first 2 shown]
	v_mul_f32_e32 v99, v23, v97
	v_fmac_f32_e32 v99, v22, v96
	v_mul_f32_e32 v96, v23, v96
	v_add_u32_e32 v122, 0x1800, v169
	v_fma_f32 v96, v22, v97, -v96
	v_fmac_f32_e32 v167, v20, v100
	v_mul_f32_e32 v97, v21, v100
	s_waitcnt lgkmcnt(2)
	v_mul_f32_e32 v100, v23, v107
	ds_read2_b64 v[118:121], v122 offset0:24 offset1:68
	ds_read2_b64 v[171:174], v84 offset0:16 offset1:60
	ds_read_b64 v[80:81], v169 offset:7040
	v_fma_f32 v97, v20, v101, -v97
	v_fmac_f32_e32 v100, v22, v106
	v_mul_f32_e32 v101, v23, v106
	s_waitcnt lgkmcnt(4)
	v_mul_f32_e32 v106, v21, v111
	v_fma_f32 v101, v22, v107, -v101
	v_fmac_f32_e32 v106, v20, v110
	v_mul_f32_e32 v107, v21, v110
	v_mul_f32_e32 v110, v23, v109
	v_fmac_f32_e32 v110, v22, v108
	v_mul_f32_e32 v108, v23, v108
	v_fma_f32 v107, v20, v111, -v107
	v_fma_f32 v108, v22, v109, -v108
	v_mul_f32_e32 v111, v21, v113
	v_mul_f32_e32 v109, v21, v112
	s_waitcnt lgkmcnt(2)
	v_mul_f32_e32 v168, v23, v121
	v_fmac_f32_e32 v111, v20, v112
	v_fma_f32 v109, v20, v113, -v109
	v_mul_f32_e32 v112, v23, v119
	v_mul_f32_e32 v113, v23, v118
	v_fmac_f32_e32 v168, v22, v120
	v_mul_f32_e32 v120, v23, v120
	v_fmac_f32_e32 v112, v22, v118
	v_fma_f32 v113, v22, v119, -v113
	s_waitcnt lgkmcnt(1)
	v_mul_f32_e32 v118, v21, v172
	v_mul_f32_e32 v119, v21, v171
	v_fma_f32 v120, v22, v121, -v120
	v_mul_f32_e32 v121, v21, v174
	v_mul_f32_e32 v21, v21, v173
	v_fmac_f32_e32 v118, v20, v171
	v_fma_f32 v119, v20, v172, -v119
	v_fmac_f32_e32 v121, v20, v173
	v_fma_f32 v171, v20, v174, -v21
	s_waitcnt lgkmcnt(0)
	v_mul_f32_e32 v172, v23, v81
	v_mul_f32_e32 v20, v23, v80
	v_add_f32_e32 v21, v123, v93
	v_fmac_f32_e32 v172, v22, v80
	v_fma_f32 v173, v22, v81, -v20
	v_fma_f32 v22, -0.5, v21, v86
	v_add_f32_e32 v23, v92, v94
	v_sub_f32_e32 v21, v92, v94
	v_mov_b32_e32 v80, v22
	v_fma_f32 v23, -0.5, v23, v87
	v_add_f32_e32 v20, v86, v123
	v_fmac_f32_e32 v80, 0xbf5db3d7, v21
	v_fmac_f32_e32 v22, 0x3f5db3d7, v21
	v_add_f32_e32 v21, v87, v92
	v_sub_f32_e32 v86, v123, v93
	v_mov_b32_e32 v81, v23
	v_add_f32_e32 v87, v95, v99
	v_fmac_f32_e32 v81, 0x3f5db3d7, v86
	v_fmac_f32_e32 v23, 0xbf5db3d7, v86
	v_add_f32_e32 v86, v88, v95
	v_fma_f32 v88, -0.5, v87, v88
	v_sub_f32_e32 v87, v98, v96
	v_mov_b32_e32 v92, v88
	v_add_f32_e32 v21, v21, v94
	v_fmac_f32_e32 v92, 0xbf5db3d7, v87
	v_fmac_f32_e32 v88, 0x3f5db3d7, v87
	v_add_f32_e32 v87, v89, v98
	v_sub_f32_e32 v94, v95, v99
	v_add_f32_e32 v95, v167, v100
	v_add_f32_e32 v20, v20, v93
	v_add_f32_e32 v87, v87, v96
	v_add_f32_e32 v93, v98, v96
	v_fma_f32 v96, -0.5, v95, v102
	v_fmac_f32_e32 v89, -0.5, v93
	v_sub_f32_e32 v95, v97, v101
	v_mov_b32_e32 v98, v96
	v_mov_b32_e32 v93, v89
	v_fmac_f32_e32 v98, 0xbf5db3d7, v95
	v_fmac_f32_e32 v96, 0x3f5db3d7, v95
	v_add_f32_e32 v95, v103, v97
	v_add_f32_e32 v97, v97, v101
	v_fmac_f32_e32 v93, 0x3f5db3d7, v94
	v_fmac_f32_e32 v89, 0xbf5db3d7, v94
	v_add_f32_e32 v94, v102, v167
	v_fma_f32 v97, -0.5, v97, v103
	v_add_f32_e32 v86, v86, v99
	v_add_f32_e32 v94, v94, v100
	;; [unrolled: 1-line block ×3, first 2 shown]
	v_sub_f32_e32 v100, v167, v100
	v_mov_b32_e32 v99, v97
	v_add_f32_e32 v101, v106, v110
	v_fmac_f32_e32 v99, 0x3f5db3d7, v100
	v_fmac_f32_e32 v97, 0xbf5db3d7, v100
	v_add_f32_e32 v100, v104, v106
	v_fma_f32 v104, -0.5, v101, v104
	v_sub_f32_e32 v101, v107, v108
	v_mov_b32_e32 v102, v104
	v_fmac_f32_e32 v102, 0xbf5db3d7, v101
	v_fmac_f32_e32 v104, 0x3f5db3d7, v101
	v_add_f32_e32 v101, v105, v107
	v_add_f32_e32 v103, v107, v108
	;; [unrolled: 1-line block ×4, first 2 shown]
	v_fma_f32 v108, -0.5, v107, v114
	v_add_f32_e32 v100, v100, v110
	v_fmac_f32_e32 v105, -0.5, v103
	v_sub_f32_e32 v106, v106, v110
	v_sub_f32_e32 v107, v109, v113
	v_mov_b32_e32 v110, v108
	v_mov_b32_e32 v103, v105
	v_fmac_f32_e32 v110, 0xbf5db3d7, v107
	v_fmac_f32_e32 v108, 0x3f5db3d7, v107
	v_add_f32_e32 v107, v115, v109
	v_add_f32_e32 v109, v109, v113
	v_fmac_f32_e32 v103, 0x3f5db3d7, v106
	v_fmac_f32_e32 v105, 0xbf5db3d7, v106
	v_add_f32_e32 v106, v114, v111
	v_fma_f32 v109, -0.5, v109, v115
	v_add_f32_e32 v106, v106, v112
	v_sub_f32_e32 v112, v111, v112
	v_mov_b32_e32 v111, v109
	v_add_f32_e32 v107, v107, v113
	v_fmac_f32_e32 v111, 0x3f5db3d7, v112
	v_fmac_f32_e32 v109, 0xbf5db3d7, v112
	s_waitcnt lgkmcnt(0)
	; wave barrier
	ds_write2_b64 v202, v[20:21], v[80:81] offset1:4
	ds_write_b64 v202, v[22:23] offset:64
	ds_write2_b64 v189, v[86:87], v[92:93] offset1:4
	ds_write_b64 v189, v[88:89] offset:64
	;; [unrolled: 2-line block ×5, first 2 shown]
	buffer_load_dword v20, off, s[20:23], 0 ; 4-byte Folded Reload
	v_add_f32_e32 v113, v118, v168
	v_add_f32_e32 v112, v116, v118
	v_fma_f32 v116, -0.5, v113, v116
	v_sub_f32_e32 v113, v119, v120
	v_mov_b32_e32 v114, v116
	v_add_f32_e32 v115, v119, v120
	v_fmac_f32_e32 v114, 0xbf5db3d7, v113
	v_fmac_f32_e32 v116, 0x3f5db3d7, v113
	v_add_f32_e32 v113, v117, v119
	v_fmac_f32_e32 v117, -0.5, v115
	v_sub_f32_e32 v118, v118, v168
	v_mov_b32_e32 v115, v117
	v_add_f32_e32 v112, v112, v168
	v_add_f32_e32 v113, v113, v120
	v_fmac_f32_e32 v115, 0x3f5db3d7, v118
	v_fmac_f32_e32 v117, 0xbf5db3d7, v118
	s_waitcnt vmcnt(0)
	ds_write2_b64 v20, v[112:113], v[114:115] offset1:4
	ds_write_b64 v20, v[116:117] offset:64
	buffer_load_dword v20, off, s[20:23], 0 offset:4 ; 4-byte Folded Reload
	v_add_f32_e32 v119, v121, v172
	v_add_f32_e32 v118, v90, v121
	v_fma_f32 v90, -0.5, v119, v90
	v_sub_f32_e32 v119, v171, v173
	v_mov_b32_e32 v120, v90
	v_add_f32_e32 v123, v171, v173
	v_fmac_f32_e32 v120, 0xbf5db3d7, v119
	v_fmac_f32_e32 v90, 0x3f5db3d7, v119
	v_add_f32_e32 v119, v91, v171
	v_fmac_f32_e32 v91, -0.5, v123
	v_sub_f32_e32 v123, v121, v172
	v_mov_b32_e32 v121, v91
	v_add_f32_e32 v118, v118, v172
	v_add_f32_e32 v119, v119, v173
	v_fmac_f32_e32 v121, 0x3f5db3d7, v123
	v_fmac_f32_e32 v91, 0xbf5db3d7, v123
	s_waitcnt vmcnt(0)
	ds_write2_b64 v20, v[118:119], v[120:121] offset1:4
	ds_write_b64 v20, v[90:91] offset:64
	s_waitcnt lgkmcnt(0)
	; wave barrier
	s_waitcnt lgkmcnt(0)
	ds_read2_b64 v[20:23], v169 offset1:44
	ds_read2_b64 v[86:89], v169 offset0:88 offset1:132
	ds_read2_b64 v[90:93], v85 offset0:8 offset1:52
	;; [unrolled: 1-line block ×9, first 2 shown]
	ds_read_b64 v[80:81], v169 offset:7040
	s_waitcnt lgkmcnt(9)
	v_mul_f32_e32 v122, v33, v89
	v_mul_f32_e32 v33, v33, v88
	v_fmac_f32_e32 v122, v32, v88
	v_fma_f32 v32, v32, v89, -v33
	s_waitcnt lgkmcnt(8)
	v_mul_f32_e32 v33, v35, v91
	v_mul_f32_e32 v35, v35, v90
	v_fmac_f32_e32 v33, v34, v90
	v_fma_f32 v34, v34, v91, -v35
	s_waitcnt lgkmcnt(7)
	v_mul_f32_e32 v35, v25, v97
	v_mul_f32_e32 v25, v25, v96
	v_fmac_f32_e32 v35, v24, v96
	v_fma_f32 v24, v24, v97, -v25
	s_waitcnt lgkmcnt(6)
	v_mul_f32_e32 v25, v27, v99
	v_mul_f32_e32 v27, v27, v98
	v_fmac_f32_e32 v25, v26, v98
	v_fma_f32 v26, v26, v99, -v27
	s_waitcnt lgkmcnt(5)
	v_mul_f32_e32 v27, v53, v105
	v_mul_f32_e32 v53, v53, v104
	v_fmac_f32_e32 v27, v52, v104
	v_fma_f32 v52, v52, v105, -v53
	s_waitcnt lgkmcnt(4)
	v_mul_f32_e32 v53, v55, v107
	v_mul_f32_e32 v55, v55, v106
	v_fmac_f32_e32 v53, v54, v106
	v_fma_f32 v54, v54, v107, -v55
	s_waitcnt lgkmcnt(3)
	v_mul_f32_e32 v55, v45, v111
	v_mul_f32_e32 v45, v45, v110
	v_fmac_f32_e32 v55, v44, v110
	v_fma_f32 v88, v44, v111, -v45
	v_mul_f32_e32 v44, v47, v92
	v_mul_f32_e32 v89, v47, v93
	v_fma_f32 v90, v46, v93, -v44
	s_waitcnt lgkmcnt(2)
	v_mul_f32_e32 v91, v37, v115
	v_mul_f32_e32 v37, v37, v114
	;; [unrolled: 1-line block ×3, first 2 shown]
	v_fmac_f32_e32 v89, v46, v92
	v_fmac_f32_e32 v91, v36, v114
	v_fma_f32 v36, v36, v115, -v37
	v_mul_f32_e32 v37, v39, v101
	v_fma_f32 v92, v56, v113, -v44
	v_mul_f32_e32 v93, v59, v95
	v_mul_f32_e32 v44, v59, v94
	s_waitcnt lgkmcnt(1)
	v_mul_f32_e32 v99, v41, v121
	v_mul_f32_e32 v41, v41, v120
	v_fmac_f32_e32 v37, v38, v100
	v_mul_f32_e32 v39, v39, v100
	v_fmac_f32_e32 v93, v58, v94
	v_fma_f32 v94, v58, v95, -v44
	v_mul_f32_e32 v44, v49, v116
	v_mul_f32_e32 v97, v51, v103
	v_fmac_f32_e32 v99, v40, v120
	v_fma_f32 v100, v40, v121, -v41
	s_waitcnt lgkmcnt(0)
	v_mul_f32_e32 v40, v43, v80
	v_fma_f32 v38, v38, v101, -v39
	v_fma_f32 v96, v48, v117, -v44
	v_fmac_f32_e32 v97, v50, v102
	v_mul_f32_e32 v44, v51, v102
	v_mul_f32_e32 v101, v43, v81
	v_fma_f32 v102, v42, v81, -v40
	v_add_f32_e32 v40, v122, v53
	v_add_f32_e32 v43, v33, v27
	v_mul_f32_e32 v95, v49, v117
	v_fma_f32 v98, v50, v103, -v44
	v_add_f32_e32 v41, v32, v54
	v_add_f32_e32 v44, v34, v52
	v_sub_f32_e32 v27, v33, v27
	v_sub_f32_e32 v33, v34, v52
	v_add_f32_e32 v34, v35, v25
	v_add_f32_e32 v45, v24, v26
	v_sub_f32_e32 v25, v25, v35
	v_sub_f32_e32 v24, v26, v24
	v_add_f32_e32 v26, v43, v40
	v_fmac_f32_e32 v95, v48, v116
	v_fmac_f32_e32 v101, v42, v80
	v_sub_f32_e32 v42, v122, v53
	v_add_f32_e32 v35, v44, v41
	v_sub_f32_e32 v46, v43, v40
	v_sub_f32_e32 v48, v40, v34
	v_add_f32_e32 v40, v25, v27
	v_add_f32_e32 v26, v34, v26
	v_sub_f32_e32 v32, v32, v54
	v_sub_f32_e32 v47, v44, v41
	v_sub_f32_e32 v49, v41, v45
	v_sub_f32_e32 v43, v34, v43
	v_add_f32_e32 v41, v24, v33
	v_sub_f32_e32 v50, v25, v27
	v_add_f32_e32 v34, v45, v35
	v_add_f32_e32 v35, v40, v42
	;; [unrolled: 1-line block ×3, first 2 shown]
	v_sub_f32_e32 v44, v45, v44
	v_sub_f32_e32 v51, v24, v33
	;; [unrolled: 1-line block ×5, first 2 shown]
	v_add_f32_e32 v32, v41, v32
	v_add_f32_e32 v41, v21, v34
	v_mul_f32_e32 v53, 0x3f08b237, v50
	v_mov_b32_e32 v50, v40
	v_mul_f32_e32 v39, v29, v119
	v_mul_f32_e32 v29, v29, v118
	v_sub_f32_e32 v25, v42, v25
	v_mul_f32_e32 v20, 0x3f4a47b2, v48
	v_mul_f32_e32 v21, 0x3f4a47b2, v49
	;; [unrolled: 1-line block ×5, first 2 shown]
	s_mov_b32 s4, 0xbf5ff5aa
	v_mul_f32_e32 v48, 0xbf5ff5aa, v27
	v_fmac_f32_e32 v50, 0xbf955555, v26
	v_mov_b32_e32 v26, v41
	s_mov_b32 s5, 0x3f3bfb3b
	s_mov_b32 s6, 0xbf3bfb3b
	;; [unrolled: 1-line block ×3, first 2 shown]
	v_fmac_f32_e32 v39, v28, v118
	v_fma_f32 v28, v28, v119, -v29
	v_mul_f32_e32 v29, v31, v109
	v_mul_f32_e32 v49, 0xbf5ff5aa, v33
	v_fmac_f32_e32 v26, 0xbf955555, v34
	v_fma_f32 v34, v46, s5, -v42
	v_fma_f32 v42, v47, s5, -v45
	;; [unrolled: 1-line block ×3, first 2 shown]
	v_fmac_f32_e32 v20, 0x3d64c772, v43
	v_fma_f32 v43, v47, s6, -v21
	v_fmac_f32_e32 v21, 0x3d64c772, v44
	v_fma_f32 v27, v27, s4, -v53
	;; [unrolled: 2-line block ×4, first 2 shown]
	v_fmac_f32_e32 v29, v30, v108
	v_mul_f32_e32 v31, v31, v108
	v_fma_f32 v24, v24, s7, -v49
	v_add_f32_e32 v20, v20, v50
	v_add_f32_e32 v21, v21, v26
	;; [unrolled: 1-line block ×4, first 2 shown]
	v_fmac_f32_e32 v52, 0xbee1c552, v32
	v_fmac_f32_e32 v25, 0xbee1c552, v35
	v_fma_f32 v30, v30, v109, -v31
	v_add_f32_e32 v34, v34, v50
	v_add_f32_e32 v50, v45, v50
	v_fmac_f32_e32 v53, 0xbee1c552, v35
	v_fmac_f32_e32 v27, 0xbee1c552, v35
	;; [unrolled: 1-line block ×3, first 2 shown]
	v_add_f32_e32 v42, v52, v20
	v_sub_f32_e32 v45, v26, v25
	v_add_f32_e32 v51, v25, v26
	v_sub_f32_e32 v52, v20, v52
	v_add_f32_e32 v20, v55, v29
	v_add_f32_e32 v26, v89, v39
	v_sub_f32_e32 v43, v21, v53
	v_sub_f32_e32 v46, v34, v33
	v_add_f32_e32 v47, v27, v49
	v_add_f32_e32 v48, v33, v34
	v_sub_f32_e32 v49, v49, v27
	v_add_f32_e32 v53, v53, v21
	v_add_f32_e32 v21, v88, v30
	v_sub_f32_e32 v25, v88, v30
	v_add_f32_e32 v27, v90, v28
	v_sub_f32_e32 v28, v90, v28
	;; [unrolled: 2-line block ×3, first 2 shown]
	v_add_f32_e32 v35, v26, v20
	v_fmac_f32_e32 v24, 0xbee1c552, v32
	v_add_f32_e32 v32, v36, v38
	v_sub_f32_e32 v33, v37, v91
	v_add_f32_e32 v36, v27, v21
	v_sub_f32_e32 v37, v26, v20
	v_sub_f32_e32 v20, v20, v30
	;; [unrolled: 1-line block ×3, first 2 shown]
	v_add_f32_e32 v54, v34, v28
	v_add_f32_e32 v30, v30, v35
	v_mul_f32_e32 v31, v57, v113
	v_add_f32_e32 v44, v24, v50
	v_sub_f32_e32 v50, v50, v24
	v_sub_f32_e32 v24, v55, v29
	;; [unrolled: 1-line block ×9, first 2 shown]
	v_add_f32_e32 v32, v32, v36
	v_add_f32_e32 v25, v54, v25
	;; [unrolled: 1-line block ×3, first 2 shown]
	v_fmac_f32_e32 v31, v56, v112
	v_sub_f32_e32 v56, v33, v29
	v_add_f32_e32 v55, v23, v32
	v_mul_f32_e32 v36, 0x3f08b237, v57
	v_mov_b32_e32 v57, v54
	v_add_f32_e32 v39, v33, v29
	v_sub_f32_e32 v29, v29, v24
	v_mul_f32_e32 v20, 0x3f4a47b2, v20
	v_mul_f32_e32 v21, 0x3f4a47b2, v21
	;; [unrolled: 1-line block ×5, first 2 shown]
	v_fmac_f32_e32 v57, 0xbf955555, v30
	v_mov_b32_e32 v30, v55
	v_sub_f32_e32 v33, v24, v33
	v_add_f32_e32 v24, v39, v24
	v_mul_f32_e32 v39, 0xbf5ff5aa, v29
	v_mul_f32_e32 v56, 0xbf5ff5aa, v28
	v_fmac_f32_e32 v30, 0xbf955555, v32
	v_fma_f32 v22, v37, s5, -v22
	v_fma_f32 v23, v38, s5, -v23
	;; [unrolled: 1-line block ×3, first 2 shown]
	v_fmac_f32_e32 v20, 0x3d64c772, v26
	v_fma_f32 v26, v38, s6, -v21
	v_fmac_f32_e32 v21, 0x3d64c772, v27
	v_fma_f32 v27, v29, s4, -v35
	v_fma_f32 v28, v28, s4, -v36
	v_fmac_f32_e32 v36, 0xbeae86e6, v34
	v_fmac_f32_e32 v35, 0xbeae86e6, v33
	v_fma_f32 v29, v33, s7, -v39
	v_fma_f32 v33, v34, s7, -v56
	v_add_f32_e32 v34, v20, v57
	v_add_f32_e32 v37, v21, v30
	v_add_f32_e32 v20, v22, v57
	v_add_f32_e32 v21, v23, v30
	v_add_f32_e32 v23, v26, v30
	v_fmac_f32_e32 v36, 0xbee1c552, v25
	v_fmac_f32_e32 v27, 0xbee1c552, v24
	;; [unrolled: 1-line block ×3, first 2 shown]
	v_add_f32_e32 v26, v31, v101
	v_add_f32_e32 v30, v93, v99
	;; [unrolled: 1-line block ×3, first 2 shown]
	v_fmac_f32_e32 v35, 0xbee1c552, v24
	v_fmac_f32_e32 v29, 0xbee1c552, v24
	;; [unrolled: 1-line block ×3, first 2 shown]
	v_add_f32_e32 v56, v36, v34
	v_sub_f32_e32 v80, v20, v28
	v_add_f32_e32 v81, v27, v21
	v_add_f32_e32 v20, v28, v20
	v_sub_f32_e32 v21, v21, v27
	v_sub_f32_e32 v24, v34, v36
	v_add_f32_e32 v27, v92, v102
	v_sub_f32_e32 v28, v31, v101
	v_add_f32_e32 v31, v94, v100
	;; [unrolled: 2-line block ×8, first 2 shown]
	v_sub_f32_e32 v88, v30, v26
	v_sub_f32_e32 v90, v26, v34
	;; [unrolled: 1-line block ×3, first 2 shown]
	v_add_f32_e32 v26, v36, v32
	v_add_f32_e32 v34, v34, v38
	v_sub_f32_e32 v59, v23, v29
	v_add_f32_e32 v23, v29, v23
	v_sub_f32_e32 v29, v92, v102
	v_sub_f32_e32 v89, v31, v27
	;; [unrolled: 1-line block ×4, first 2 shown]
	v_add_f32_e32 v27, v37, v33
	v_sub_f32_e32 v92, v36, v32
	v_sub_f32_e32 v36, v28, v36
	;; [unrolled: 1-line block ×3, first 2 shown]
	v_add_f32_e32 v35, v35, v39
	v_add_f32_e32 v28, v26, v28
	;; [unrolled: 1-line block ×3, first 2 shown]
	v_sub_f32_e32 v93, v37, v33
	v_sub_f32_e32 v37, v29, v37
	;; [unrolled: 1-line block ×3, first 2 shown]
	v_add_f32_e32 v29, v27, v29
	v_add_f32_e32 v27, v87, v35
	v_mov_b32_e32 v94, v26
	v_mul_f32_e32 v38, 0x3f4a47b2, v90
	v_mul_f32_e32 v39, 0x3f4a47b2, v91
	;; [unrolled: 1-line block ×8, first 2 shown]
	v_fmac_f32_e32 v94, 0xbf955555, v34
	v_mov_b32_e32 v34, v27
	v_fmac_f32_e32 v34, 0xbf955555, v35
	v_fma_f32 v35, v88, s5, -v86
	v_fma_f32 v86, v89, s5, -v87
	;; [unrolled: 1-line block ×4, first 2 shown]
	v_fmac_f32_e32 v90, 0xbeae86e6, v36
	v_fma_f32 v92, v36, s7, -v92
	v_fma_f32 v36, v37, s7, -v93
	v_fmac_f32_e32 v38, 0x3d64c772, v30
	v_fma_f32 v30, v89, s6, -v39
	v_fma_f32 v89, v33, s4, -v91
	v_fmac_f32_e32 v91, 0xbeae86e6, v37
	v_add_f32_e32 v37, v86, v34
	v_add_f32_e32 v86, v87, v94
	v_fmac_f32_e32 v36, 0xbee1c552, v29
	v_add_f32_e32 v87, v30, v34
	v_add_f32_e32 v30, v36, v86
	v_sub_f32_e32 v36, v86, v36
	s_waitcnt lgkmcnt(0)
	; wave barrier
	buffer_load_dword v86, off, s[20:23], 0 offset:8 ; 4-byte Folded Reload
	s_waitcnt vmcnt(0)
	ds_write2_b64 v86, v[40:41], v[42:43] offset1:12
	ds_write2_b64 v86, v[44:45], v[46:47] offset0:24 offset1:36
	ds_write2_b64 v86, v[48:49], v[50:51] offset0:48 offset1:60
	ds_write_b64 v86, v[52:53] offset:576
	buffer_load_dword v40, off, s[20:23], 0 offset:12 ; 4-byte Folded Reload
	s_waitcnt vmcnt(0)
	ds_write2_b64 v40, v[54:55], v[56:57] offset1:12
	ds_write2_b64 v40, v[58:59], v[80:81] offset0:24 offset1:36
	ds_write2_b64 v40, v[20:21], v[22:23] offset0:48 offset1:60
	ds_write_b64 v40, v[24:25] offset:576
	buffer_load_dword v40, off, s[20:23], 0 offset:16 ; 4-byte Folded Reload
	v_fmac_f32_e32 v39, 0x3d64c772, v31
	v_add_f32_e32 v38, v38, v94
	v_add_f32_e32 v39, v39, v34
	v_fmac_f32_e32 v90, 0xbee1c552, v28
	v_fmac_f32_e32 v91, 0xbee1c552, v29
	v_add_f32_e32 v35, v35, v94
	v_fmac_f32_e32 v88, 0xbee1c552, v28
	v_fmac_f32_e32 v89, 0xbee1c552, v29
	v_fmac_f32_e32 v92, 0xbee1c552, v28
	v_add_f32_e32 v28, v91, v38
	v_sub_f32_e32 v29, v39, v90
	v_add_u32_e32 v86, 0xc00, v169
	v_sub_f32_e32 v31, v87, v92
	v_sub_f32_e32 v32, v35, v89
	v_add_f32_e32 v33, v88, v37
	v_add_f32_e32 v34, v89, v35
	v_sub_f32_e32 v35, v37, v88
	v_add_f32_e32 v37, v92, v87
	v_sub_f32_e32 v38, v38, v91
	v_add_f32_e32 v39, v90, v39
	s_waitcnt vmcnt(0)
	ds_write2_b64 v40, v[26:27], v[28:29] offset1:12
	ds_write2_b64 v40, v[30:31], v[32:33] offset0:24 offset1:36
	ds_write2_b64 v40, v[34:35], v[36:37] offset0:48 offset1:60
	ds_write_b64 v40, v[38:39] offset:576
	s_waitcnt lgkmcnt(0)
	; wave barrier
	s_waitcnt lgkmcnt(0)
	ds_read2_b64 v[40:43], v169 offset1:84
	ds_read2_b64 v[56:59], v169 offset0:168 offset1:252
	ds_read2_b64 v[52:55], v85 offset0:80 offset1:164
	;; [unrolled: 1-line block ×4, first 2 shown]
	ds_read_b64 v[80:81], v169 offset:6720
	s_and_saveexec_b64 s[4:5], s[2:3]
	s_cbranch_execz .LBB0_27
; %bb.26:
	v_add_u32_e32 v24, 0x400, v169
	ds_read2_b64 v[20:23], v169 offset0:44 offset1:128
	ds_read2_b64 v[24:27], v24 offset0:84 offset1:168
	ds_read2_b64 v[28:31], v85 offset0:124 offset1:208
	ds_read2_b64 v[32:35], v84 offset0:36 offset1:120
	v_add_u32_e32 v36, 0x1400, v169
	ds_read2_b64 v[36:39], v36 offset0:76 offset1:160
	ds_read_b64 v[82:83], v169 offset:7072
.LBB0_27:
	s_or_b64 exec, exec, s[4:5]
	s_waitcnt lgkmcnt(5)
	v_mul_f32_e32 v87, v77, v43
	v_fmac_f32_e32 v87, v76, v42
	v_mul_f32_e32 v42, v77, v42
	v_fma_f32 v76, v76, v43, -v42
	s_waitcnt lgkmcnt(4)
	v_mul_f32_e32 v77, v79, v57
	v_mul_f32_e32 v42, v79, v56
	v_fmac_f32_e32 v77, v78, v56
	v_fma_f32 v56, v78, v57, -v42
	v_mul_f32_e32 v57, v73, v59
	v_mul_f32_e32 v42, v73, v58
	v_fmac_f32_e32 v57, v72, v58
	v_fma_f32 v58, v72, v59, -v42
	s_waitcnt lgkmcnt(3)
	v_mul_f32_e32 v59, v75, v53
	v_mul_f32_e32 v42, v75, v52
	v_fmac_f32_e32 v59, v74, v52
	v_fma_f32 v52, v74, v53, -v42
	v_mul_f32_e32 v53, v69, v55
	v_mul_f32_e32 v42, v69, v54
	v_fmac_f32_e32 v53, v68, v54
	v_fma_f32 v54, v68, v55, -v42
	s_waitcnt lgkmcnt(2)
	v_mul_f32_e32 v55, v71, v49
	v_mul_f32_e32 v42, v71, v48
	v_add_f32_e32 v43, v41, v76
	v_fmac_f32_e32 v55, v70, v48
	v_fma_f32 v48, v70, v49, -v42
	v_mul_f32_e32 v49, v65, v51
	v_mul_f32_e32 v42, v65, v50
	v_add_f32_e32 v43, v43, v56
	v_fmac_f32_e32 v49, v64, v50
	v_fma_f32 v50, v64, v51, -v42
	s_waitcnt lgkmcnt(1)
	v_mul_f32_e32 v51, v67, v45
	v_mul_f32_e32 v42, v67, v44
	v_add_f32_e32 v43, v43, v58
	v_fmac_f32_e32 v51, v66, v44
	v_fma_f32 v44, v66, v45, -v42
	v_mul_f32_e32 v45, v61, v47
	v_mul_f32_e32 v42, v61, v46
	v_add_f32_e32 v43, v43, v52
	v_fmac_f32_e32 v45, v60, v46
	v_fma_f32 v46, v60, v47, -v42
	s_waitcnt lgkmcnt(0)
	v_mul_f32_e32 v42, v63, v80
	v_add_f32_e32 v43, v43, v54
	v_fma_f32 v60, v62, v81, -v42
	v_add_f32_e32 v42, v40, v87
	v_add_f32_e32 v43, v43, v48
	;; [unrolled: 1-line block ×6, first 2 shown]
	v_mul_f32_e32 v47, v63, v81
	v_add_f32_e32 v42, v42, v59
	v_add_f32_e32 v43, v43, v46
	v_fmac_f32_e32 v47, v62, v80
	v_add_f32_e32 v42, v42, v53
	v_add_f32_e32 v43, v43, v60
	;; [unrolled: 1-line block ×3, first 2 shown]
	v_sub_f32_e32 v60, v76, v60
	v_add_f32_e32 v42, v42, v55
	v_mul_f32_e32 v63, 0xbf0a6770, v60
	v_mul_f32_e32 v67, 0xbf68dda4, v60
	;; [unrolled: 1-line block ×5, first 2 shown]
	v_add_f32_e32 v42, v42, v49
	v_add_f32_e32 v61, v87, v47
	s_mov_b32 s6, 0x3f575c64
	v_mov_b32_e32 v64, v63
	s_mov_b32 s7, 0x3ed4b147
	v_mov_b32_e32 v68, v67
	;; [unrolled: 2-line block ×5, first 2 shown]
	v_add_f32_e32 v42, v42, v51
	v_fmac_f32_e32 v64, 0x3f575c64, v61
	v_fma_f32 v63, v61, s6, -v63
	v_fmac_f32_e32 v68, 0x3ed4b147, v61
	v_fma_f32 v67, v61, s7, -v67
	;; [unrolled: 2-line block ×5, first 2 shown]
	v_add_f32_e32 v42, v42, v45
	v_add_f32_e32 v64, v40, v64
	v_mul_f32_e32 v65, 0x3f575c64, v62
	v_add_f32_e32 v63, v40, v63
	v_add_f32_e32 v68, v40, v68
	v_mul_f32_e32 v69, 0x3ed4b147, v62
	;; [unrolled: 3-line block ×5, first 2 shown]
	v_add_f32_e32 v40, v40, v60
	v_add_f32_e32 v60, v56, v46
	v_sub_f32_e32 v46, v56, v46
	v_add_f32_e32 v42, v42, v47
	v_sub_f32_e32 v47, v87, v47
	v_mov_b32_e32 v66, v65
	v_mov_b32_e32 v70, v69
	;; [unrolled: 1-line block ×5, first 2 shown]
	v_mul_f32_e32 v56, 0xbf68dda4, v46
	v_fmac_f32_e32 v66, 0x3f0a6770, v47
	v_fmac_f32_e32 v65, 0xbf0a6770, v47
	;; [unrolled: 1-line block ×10, first 2 shown]
	v_add_f32_e32 v47, v77, v45
	v_mov_b32_e32 v61, v56
	v_add_f32_e32 v66, v41, v66
	v_add_f32_e32 v65, v41, v65
	;; [unrolled: 1-line block ×10, first 2 shown]
	v_sub_f32_e32 v45, v77, v45
	v_fmac_f32_e32 v61, 0x3ed4b147, v47
	v_mul_f32_e32 v62, 0x3ed4b147, v60
	v_fma_f32 v56, v47, s7, -v56
	v_add_f32_e32 v61, v61, v64
	v_mov_b32_e32 v64, v62
	v_add_f32_e32 v56, v56, v63
	v_fmac_f32_e32 v62, 0xbf68dda4, v45
	v_mul_f32_e32 v63, 0xbf4178ce, v46
	v_fmac_f32_e32 v64, 0x3f68dda4, v45
	v_add_f32_e32 v62, v62, v65
	v_mov_b32_e32 v65, v63
	v_add_f32_e32 v64, v64, v66
	v_fmac_f32_e32 v65, 0xbf27a4f4, v47
	v_mul_f32_e32 v66, 0xbf27a4f4, v60
	v_fma_f32 v63, v47, s15, -v63
	v_add_f32_e32 v65, v65, v68
	v_mov_b32_e32 v68, v66
	v_add_f32_e32 v63, v63, v67
	v_fmac_f32_e32 v66, 0xbf4178ce, v45
	v_mul_f32_e32 v67, 0x3e903f40, v46
	v_fmac_f32_e32 v68, 0x3f4178ce, v45
	v_add_f32_e32 v66, v66, v69
	v_mov_b32_e32 v69, v67
	v_add_f32_e32 v68, v68, v70
	v_fmac_f32_e32 v69, 0xbf75a155, v47
	v_mul_f32_e32 v70, 0xbf75a155, v60
	v_fma_f32 v67, v47, s16, -v67
	v_add_f32_e32 v69, v69, v72
	v_mov_b32_e32 v72, v70
	v_add_f32_e32 v67, v67, v71
	v_fmac_f32_e32 v70, 0x3e903f40, v45
	v_mul_f32_e32 v71, 0x3f7d64f0, v46
	v_fmac_f32_e32 v72, 0xbe903f40, v45
	v_add_f32_e32 v70, v70, v73
	v_mov_b32_e32 v73, v71
	v_fma_f32 v71, v47, s14, -v71
	v_mul_f32_e32 v46, 0x3f0a6770, v46
	v_add_f32_e32 v72, v72, v74
	v_fmac_f32_e32 v73, 0xbe11bafb, v47
	v_mul_f32_e32 v74, 0xbe11bafb, v60
	v_add_f32_e32 v71, v71, v75
	v_mov_b32_e32 v75, v46
	v_mul_f32_e32 v60, 0x3f575c64, v60
	v_fma_f32 v46, v47, s6, -v46
	v_add_f32_e32 v73, v73, v76
	v_mov_b32_e32 v76, v74
	v_mov_b32_e32 v77, v60
	v_add_f32_e32 v40, v46, v40
	v_add_f32_e32 v46, v58, v44
	v_sub_f32_e32 v44, v58, v44
	v_fmac_f32_e32 v76, 0xbf7d64f0, v45
	v_fmac_f32_e32 v74, 0x3f7d64f0, v45
	;; [unrolled: 1-line block ×5, first 2 shown]
	v_add_f32_e32 v45, v57, v51
	v_sub_f32_e32 v47, v57, v51
	v_mul_f32_e32 v51, 0xbf7d64f0, v44
	v_mul_f32_e32 v58, 0xbe11bafb, v46
	v_add_f32_e32 v41, v60, v41
	v_mov_b32_e32 v57, v51
	v_mov_b32_e32 v60, v58
	v_fma_f32 v51, v45, s14, -v51
	v_fmac_f32_e32 v58, 0xbf7d64f0, v47
	v_fmac_f32_e32 v57, 0xbe11bafb, v45
	v_add_f32_e32 v51, v51, v56
	v_add_f32_e32 v56, v58, v62
	v_mul_f32_e32 v58, 0x3e903f40, v44
	v_add_f32_e32 v57, v57, v61
	v_mov_b32_e32 v61, v58
	v_fma_f32 v58, v45, s16, -v58
	v_fmac_f32_e32 v60, 0x3f7d64f0, v47
	v_fmac_f32_e32 v61, 0xbf75a155, v45
	v_mul_f32_e32 v62, 0xbf75a155, v46
	v_add_f32_e32 v58, v58, v63
	v_mul_f32_e32 v63, 0x3f68dda4, v44
	v_add_f32_e32 v60, v60, v64
	v_add_f32_e32 v61, v61, v65
	v_mov_b32_e32 v64, v62
	v_fmac_f32_e32 v62, 0x3e903f40, v47
	v_mov_b32_e32 v65, v63
	v_fma_f32 v63, v45, s7, -v63
	v_fmac_f32_e32 v64, 0xbe903f40, v47
	v_add_f32_e32 v62, v62, v66
	v_fmac_f32_e32 v65, 0x3ed4b147, v45
	v_mul_f32_e32 v66, 0x3ed4b147, v46
	v_add_f32_e32 v63, v63, v67
	v_mul_f32_e32 v67, 0xbf0a6770, v44
	v_add_f32_e32 v64, v64, v68
	v_add_f32_e32 v65, v65, v69
	v_mov_b32_e32 v68, v66
	v_fmac_f32_e32 v66, 0x3f68dda4, v47
	v_mov_b32_e32 v69, v67
	v_fmac_f32_e32 v68, 0xbf68dda4, v47
	v_add_f32_e32 v66, v66, v70
	v_fmac_f32_e32 v69, 0x3f575c64, v45
	v_mul_f32_e32 v70, 0x3f575c64, v46
	v_mul_f32_e32 v46, 0xbf27a4f4, v46
	v_add_f32_e32 v68, v68, v72
	v_add_f32_e32 v69, v69, v73
	v_mov_b32_e32 v72, v70
	v_fma_f32 v67, v45, s6, -v67
	v_mul_f32_e32 v44, 0xbf4178ce, v44
	v_mov_b32_e32 v73, v46
	v_fmac_f32_e32 v72, 0x3f0a6770, v47
	v_add_f32_e32 v67, v67, v71
	v_fmac_f32_e32 v70, 0xbf0a6770, v47
	v_mov_b32_e32 v71, v44
	v_fmac_f32_e32 v73, 0x3f4178ce, v47
	v_fma_f32 v44, v45, s15, -v44
	v_fmac_f32_e32 v46, 0xbf4178ce, v47
	v_sub_f32_e32 v47, v52, v50
	v_add_f32_e32 v40, v44, v40
	v_add_f32_e32 v41, v46, v41
	;; [unrolled: 1-line block ×3, first 2 shown]
	v_sub_f32_e32 v46, v59, v49
	v_mul_f32_e32 v49, 0xbf4178ce, v47
	v_fmac_f32_e32 v71, 0xbf27a4f4, v45
	v_add_f32_e32 v45, v52, v50
	v_mov_b32_e32 v50, v49
	v_fmac_f32_e32 v50, 0xbf27a4f4, v44
	v_mul_f32_e32 v52, 0xbf27a4f4, v45
	v_add_f32_e32 v50, v50, v57
	v_mov_b32_e32 v57, v52
	v_fma_f32 v49, v44, s15, -v49
	v_fmac_f32_e32 v52, 0xbf4178ce, v46
	v_fmac_f32_e32 v57, 0x3f4178ce, v46
	v_add_f32_e32 v49, v49, v51
	v_add_f32_e32 v51, v52, v56
	v_mul_f32_e32 v52, 0x3f7d64f0, v47
	v_mul_f32_e32 v59, 0xbe11bafb, v45
	v_add_f32_e32 v57, v57, v60
	v_mov_b32_e32 v56, v52
	v_mov_b32_e32 v60, v59
	v_fma_f32 v52, v44, s14, -v52
	v_fmac_f32_e32 v59, 0x3f7d64f0, v46
	v_fmac_f32_e32 v56, 0xbe11bafb, v44
	v_add_f32_e32 v52, v52, v58
	v_add_f32_e32 v58, v59, v62
	v_mul_f32_e32 v59, 0xbf0a6770, v47
	v_add_f32_e32 v56, v56, v61
	v_mov_b32_e32 v61, v59
	v_fma_f32 v59, v44, s6, -v59
	v_fmac_f32_e32 v60, 0xbf7d64f0, v46
	v_fmac_f32_e32 v61, 0x3f575c64, v44
	v_mul_f32_e32 v62, 0x3f575c64, v45
	v_add_f32_e32 v59, v59, v63
	v_mul_f32_e32 v63, 0xbe903f40, v47
	v_add_f32_e32 v60, v60, v64
	v_add_f32_e32 v61, v61, v65
	v_mov_b32_e32 v64, v62
	v_fmac_f32_e32 v62, 0xbf0a6770, v46
	v_mov_b32_e32 v65, v63
	v_fmac_f32_e32 v64, 0x3f0a6770, v46
	v_add_f32_e32 v62, v62, v66
	v_fmac_f32_e32 v65, 0xbf75a155, v44
	v_mul_f32_e32 v66, 0xbf75a155, v45
	v_fma_f32 v63, v44, s16, -v63
	v_mul_f32_e32 v47, 0x3f68dda4, v47
	v_mul_f32_e32 v45, 0x3ed4b147, v45
	v_add_f32_e32 v76, v76, v79
	v_add_f32_e32 v74, v74, v78
	;; [unrolled: 1-line block ×6, first 2 shown]
	v_mov_b32_e32 v68, v66
	v_add_f32_e32 v63, v63, v67
	v_mov_b32_e32 v67, v47
	v_mov_b32_e32 v69, v45
	v_add_f32_e32 v72, v72, v76
	v_add_f32_e32 v70, v70, v74
	;; [unrolled: 1-line block ×4, first 2 shown]
	v_fmac_f32_e32 v68, 0x3e903f40, v46
	v_fmac_f32_e32 v66, 0xbe903f40, v46
	;; [unrolled: 1-line block ×4, first 2 shown]
	v_fma_f32 v44, v44, s7, -v47
	v_sub_f32_e32 v75, v54, v48
	v_add_f32_e32 v68, v68, v72
	v_add_f32_e32 v66, v66, v70
	v_add_f32_e32 v69, v69, v73
	v_add_f32_e32 v70, v44, v40
	v_add_f32_e32 v72, v53, v55
	v_add_f32_e32 v73, v54, v48
	v_mul_f32_e32 v44, 0xbe903f40, v75
	v_mul_f32_e32 v48, 0x3f0a6770, v75
	v_fmac_f32_e32 v45, 0x3f68dda4, v46
	v_mov_b32_e32 v40, v44
	v_fma_f32 v44, v72, s16, -v44
	v_mov_b32_e32 v46, v48
	v_fma_f32 v48, v72, s6, -v48
	v_add_f32_e32 v67, v67, v71
	v_add_f32_e32 v71, v45, v41
	v_fmac_f32_e32 v40, 0xbf75a155, v72
	v_mul_f32_e32 v45, 0xbf75a155, v73
	v_add_f32_e32 v44, v44, v49
	v_mul_f32_e32 v49, 0x3f575c64, v73
	v_add_f32_e32 v48, v48, v52
	v_mul_f32_e32 v52, 0xbf4178ce, v75
	v_sub_f32_e32 v74, v53, v55
	v_add_f32_e32 v40, v40, v50
	v_mov_b32_e32 v41, v45
	v_mov_b32_e32 v47, v49
	v_mov_b32_e32 v50, v52
	v_fmac_f32_e32 v41, 0x3e903f40, v74
	v_fmac_f32_e32 v46, 0x3f575c64, v72
	v_fmac_f32_e32 v47, 0xbf0a6770, v74
	v_fmac_f32_e32 v50, 0xbf27a4f4, v72
	v_add_f32_e32 v41, v41, v57
	v_fmac_f32_e32 v45, 0xbe903f40, v74
	v_add_f32_e32 v46, v46, v56
	v_add_f32_e32 v47, v47, v60
	v_fmac_f32_e32 v49, 0x3f0a6770, v74
	v_add_f32_e32 v50, v50, v61
	v_mul_f32_e32 v53, 0xbf27a4f4, v73
	v_fma_f32 v52, v72, s15, -v52
	v_mul_f32_e32 v56, 0x3f68dda4, v75
	v_mul_f32_e32 v57, 0x3ed4b147, v73
	;; [unrolled: 1-line block ×4, first 2 shown]
	v_add_f32_e32 v45, v45, v51
	v_add_f32_e32 v49, v49, v58
	v_mov_b32_e32 v51, v53
	v_add_f32_e32 v52, v52, v59
	v_mov_b32_e32 v54, v56
	v_mov_b32_e32 v55, v57
	;; [unrolled: 1-line block ×4, first 2 shown]
	v_fmac_f32_e32 v51, 0x3f4178ce, v74
	v_fmac_f32_e32 v53, 0xbf4178ce, v74
	;; [unrolled: 1-line block ×4, first 2 shown]
	v_fma_f32 v56, v72, s7, -v56
	v_fmac_f32_e32 v57, 0x3f68dda4, v74
	v_fmac_f32_e32 v58, 0xbe11bafb, v72
	;; [unrolled: 1-line block ×3, first 2 shown]
	v_fma_f32 v60, v72, s14, -v60
	v_fmac_f32_e32 v61, 0xbf7d64f0, v74
	v_add_f32_e32 v51, v51, v64
	v_add_f32_e32 v53, v53, v62
	;; [unrolled: 1-line block ×10, first 2 shown]
	ds_write2_b64 v169, v[42:43], v[40:41] offset1:84
	ds_write2_b64 v169, v[46:47], v[50:51] offset0:168 offset1:252
	ds_write2_b64 v85, v[54:55], v[58:59] offset0:80 offset1:164
	;; [unrolled: 1-line block ×4, first 2 shown]
	ds_write_b64 v169, v[44:45] offset:6720
	s_and_saveexec_b64 s[4:5], s[2:3]
	s_cbranch_execz .LBB0_29
; %bb.28:
	v_mul_f32_e32 v40, v13, v23
	v_mul_f32_e32 v41, v19, v83
	;; [unrolled: 1-line block ×4, first 2 shown]
	v_fmac_f32_e32 v40, v12, v22
	v_fmac_f32_e32 v41, v18, v82
	v_fma_f32 v18, v18, v83, -v19
	v_fma_f32 v19, v12, v23, -v13
	v_mul_f32_e32 v22, v15, v25
	v_mul_f32_e32 v23, v17, v39
	v_sub_f32_e32 v42, v40, v41
	v_fmac_f32_e32 v22, v14, v24
	v_fmac_f32_e32 v23, v16, v38
	v_mul_f32_e32 v43, 0xbf68dda4, v42
	v_sub_f32_e32 v44, v22, v23
	v_mul_f32_e32 v17, v17, v38
	v_mul_f32_e32 v15, v15, v24
	v_add_f32_e32 v12, v18, v19
	v_mov_b32_e32 v13, v43
	v_mul_f32_e32 v45, 0xbf4178ce, v44
	v_fma_f32 v16, v16, v39, -v17
	v_fma_f32 v14, v14, v25, -v15
	v_fmac_f32_e32 v13, 0x3ed4b147, v12
	v_add_f32_e32 v15, v16, v14
	v_mov_b32_e32 v17, v45
	v_add_f32_e32 v13, v21, v13
	v_fmac_f32_e32 v17, 0xbf27a4f4, v15
	v_add_f32_e32 v13, v17, v13
	v_mul_f32_e32 v17, v5, v27
	v_mul_f32_e32 v24, v11, v37
	;; [unrolled: 1-line block ×3, first 2 shown]
	v_fmac_f32_e32 v17, v4, v26
	v_fmac_f32_e32 v24, v10, v36
	v_mul_f32_e32 v11, v11, v36
	v_fma_f32 v26, v4, v27, -v5
	v_mul_f32_e32 v39, v9, v35
	v_mul_f32_e32 v5, v9, v34
	v_sub_f32_e32 v25, v17, v24
	v_fma_f32 v36, v10, v37, -v11
	v_mul_f32_e32 v37, v7, v29
	v_fmac_f32_e32 v39, v8, v34
	v_fma_f32 v34, v8, v35, -v5
	v_mul_f32_e32 v5, v7, v28
	v_mul_f32_e32 v38, 0x3e903f40, v25
	v_fmac_f32_e32 v37, v6, v28
	v_fma_f32 v28, v6, v29, -v5
	v_mul_f32_e32 v29, v1, v31
	v_mul_f32_e32 v35, v3, v33
	v_add_f32_e32 v27, v36, v26
	v_mov_b32_e32 v4, v38
	v_sub_f32_e32 v46, v37, v39
	v_fmac_f32_e32 v29, v0, v30
	v_fmac_f32_e32 v35, v2, v32
	;; [unrolled: 1-line block ×3, first 2 shown]
	v_mul_f32_e32 v10, 0x3f7d64f0, v46
	v_sub_f32_e32 v47, v29, v35
	v_mul_f32_e32 v3, v3, v32
	v_mul_f32_e32 v1, v1, v30
	v_add_f32_e32 v4, v4, v13
	v_add_f32_e32 v13, v34, v28
	v_mov_b32_e32 v5, v10
	v_mul_f32_e32 v11, 0x3f0a6770, v47
	v_fma_f32 v32, v2, v33, -v3
	v_fma_f32 v30, v0, v31, -v1
	v_fmac_f32_e32 v5, 0xbe11bafb, v13
	v_add_f32_e32 v31, v32, v30
	v_mov_b32_e32 v0, v11
	v_sub_f32_e32 v48, v19, v18
	v_add_f32_e32 v4, v5, v4
	v_fmac_f32_e32 v0, 0x3f575c64, v31
	v_add_f32_e32 v33, v41, v40
	v_mul_f32_e32 v49, 0xbf68dda4, v48
	v_sub_f32_e32 v51, v14, v16
	v_add_f32_e32 v1, v0, v4
	v_fma_f32 v0, v33, s7, -v49
	v_add_f32_e32 v50, v23, v22
	v_mul_f32_e32 v52, 0xbf4178ce, v51
	v_sub_f32_e32 v54, v26, v36
	v_add_f32_e32 v0, v20, v0
	v_fma_f32 v2, v50, s15, -v52
	;; [unrolled: 5-line block ×4, first 2 shown]
	v_add_f32_e32 v59, v35, v29
	v_mul_f32_e32 v61, 0x3f0a6770, v60
	v_add_f32_e32 v0, v2, v0
	v_fma_f32 v2, v59, s6, -v61
	v_mul_f32_e32 v6, 0xbf4178ce, v42
	v_add_f32_e32 v0, v2, v0
	v_mov_b32_e32 v2, v6
	v_mul_f32_e32 v7, 0x3f7d64f0, v44
	v_fmac_f32_e32 v2, 0xbf27a4f4, v12
	v_mov_b32_e32 v3, v7
	v_add_f32_e32 v2, v21, v2
	v_fmac_f32_e32 v3, 0xbe11bafb, v15
	v_mul_f32_e32 v8, 0xbf0a6770, v25
	v_add_f32_e32 v2, v3, v2
	v_mov_b32_e32 v3, v8
	v_fmac_f32_e32 v3, 0x3f575c64, v27
	v_mul_f32_e32 v9, 0xbe903f40, v46
	v_add_f32_e32 v2, v3, v2
	v_mov_b32_e32 v3, v9
	v_fmac_f32_e32 v3, 0xbf75a155, v13
	v_mul_f32_e32 v62, 0x3f68dda4, v47
	v_add_f32_e32 v2, v3, v2
	v_mov_b32_e32 v3, v62
	v_fmac_f32_e32 v3, 0x3ed4b147, v31
	v_mul_f32_e32 v63, 0xbf4178ce, v48
	v_add_f32_e32 v3, v3, v2
	v_fma_f32 v2, v33, s15, -v63
	v_mul_f32_e32 v64, 0x3f7d64f0, v51
	v_add_f32_e32 v2, v20, v2
	v_fma_f32 v4, v50, s14, -v64
	;; [unrolled: 3-line block ×5, first 2 shown]
	v_mul_f32_e32 v68, 0xbf75a155, v12
	v_add_f32_e32 v2, v4, v2
	v_mov_b32_e32 v4, v68
	v_mul_f32_e32 v69, 0x3f575c64, v15
	v_fmac_f32_e32 v4, 0x3e903f40, v42
	v_mov_b32_e32 v5, v69
	v_add_f32_e32 v4, v21, v4
	v_fmac_f32_e32 v5, 0xbf0a6770, v44
	v_mul_f32_e32 v70, 0xbf27a4f4, v27
	v_add_f32_e32 v4, v5, v4
	v_mov_b32_e32 v5, v70
	v_fmac_f32_e32 v5, 0x3f4178ce, v25
	v_mul_f32_e32 v71, 0x3ed4b147, v13
	v_add_f32_e32 v4, v5, v4
	v_mov_b32_e32 v5, v71
	v_fmac_f32_e32 v5, 0xbf68dda4, v46
	v_mul_f32_e32 v72, 0xbe11bafb, v31
	v_fma_f32 v43, v12, s7, -v43
	v_add_f32_e32 v4, v5, v4
	v_mov_b32_e32 v5, v72
	v_fma_f32 v6, v12, s15, -v6
	v_add_f32_e32 v43, v21, v43
	v_fma_f32 v45, v15, s15, -v45
	v_fmac_f32_e32 v5, 0x3f7d64f0, v47
	v_mul_f32_e32 v73, 0xbe903f40, v48
	v_add_f32_e32 v6, v21, v6
	v_fma_f32 v7, v15, s14, -v7
	v_add_f32_e32 v43, v45, v43
	v_fma_f32 v38, v27, s16, -v38
	v_add_f32_e32 v5, v5, v4
	v_mov_b32_e32 v4, v73
	v_mul_f32_e32 v74, 0x3f0a6770, v51
	v_add_f32_e32 v6, v7, v6
	v_fma_f32 v7, v27, s6, -v8
	v_add_f32_e32 v38, v38, v43
	v_fma_f32 v10, v13, s14, -v10
	v_fmac_f32_e32 v4, 0xbf75a155, v33
	v_mov_b32_e32 v75, v74
	v_add_f32_e32 v6, v7, v6
	v_fma_f32 v7, v13, s16, -v9
	v_add_f32_e32 v10, v10, v38
	v_mul_f32_e32 v38, 0x3f575c64, v12
	v_add_f32_e32 v4, v20, v4
	v_fmac_f32_e32 v75, 0x3f575c64, v50
	v_add_f32_e32 v6, v7, v6
	v_fma_f32 v7, v31, s7, -v62
	v_fmac_f32_e32 v63, 0xbf27a4f4, v33
	v_mul_f32_e32 v62, 0xbe11bafb, v12
	v_mov_b32_e32 v12, v38
	v_mul_f32_e32 v43, 0x3ed4b147, v15
	v_add_f32_e32 v4, v75, v4
	v_mul_f32_e32 v75, 0xbf4178ce, v54
	v_add_f32_e32 v7, v7, v6
	v_add_f32_e32 v6, v20, v63
	v_fmac_f32_e32 v64, 0xbe11bafb, v50
	v_mul_f32_e32 v63, 0xbf75a155, v15
	v_fmac_f32_e32 v12, 0x3f0a6770, v42
	v_mov_b32_e32 v15, v43
	v_mov_b32_e32 v76, v75
	v_add_f32_e32 v6, v64, v6
	v_mov_b32_e32 v8, v62
	v_mul_f32_e32 v64, 0x3ed4b147, v27
	v_add_f32_e32 v12, v21, v12
	v_fmac_f32_e32 v15, 0x3f68dda4, v44
	v_mul_f32_e32 v27, 0xbe11bafb, v27
	v_fmac_f32_e32 v76, 0xbf27a4f4, v53
	v_fmac_f32_e32 v65, 0x3f575c64, v53
	;; [unrolled: 1-line block ×3, first 2 shown]
	v_mov_b32_e32 v9, v63
	v_add_f32_e32 v12, v15, v12
	v_mov_b32_e32 v15, v27
	v_mul_f32_e32 v45, 0xbf27a4f4, v13
	v_add_f32_e32 v4, v76, v4
	v_mul_f32_e32 v76, 0x3f68dda4, v57
	v_add_f32_e32 v6, v65, v6
	v_fmac_f32_e32 v66, 0xbf75a155, v56
	v_add_f32_e32 v8, v21, v8
	v_fmac_f32_e32 v9, 0xbe903f40, v44
	v_mul_f32_e32 v65, 0x3f575c64, v13
	v_fmac_f32_e32 v15, 0x3f7d64f0, v25
	v_mov_b32_e32 v13, v45
	v_mov_b32_e32 v77, v76
	v_add_f32_e32 v6, v66, v6
	v_add_f32_e32 v8, v9, v8
	v_mov_b32_e32 v9, v64
	v_mul_f32_e32 v66, 0xbf27a4f4, v31
	v_fma_f32 v11, v31, s6, -v11
	v_add_f32_e32 v12, v15, v12
	v_fmac_f32_e32 v13, 0x3f4178ce, v46
	v_mul_f32_e32 v31, 0xbf75a155, v31
	v_fmac_f32_e32 v77, 0x3ed4b147, v56
	v_fmac_f32_e32 v67, 0x3ed4b147, v59
	;; [unrolled: 1-line block ×3, first 2 shown]
	v_add_f32_e32 v12, v13, v12
	v_mov_b32_e32 v13, v31
	v_add_f32_e32 v4, v77, v4
	v_mul_f32_e32 v77, 0xbf7d64f0, v60
	v_add_f32_e32 v6, v67, v6
	v_add_f32_e32 v8, v9, v8
	v_mov_b32_e32 v9, v65
	v_mul_f32_e32 v67, 0xbf7d64f0, v48
	v_fmac_f32_e32 v49, 0x3ed4b147, v33
	v_fmac_f32_e32 v13, 0x3e903f40, v47
	v_mul_f32_e32 v48, 0xbf0a6770, v48
	v_mov_b32_e32 v78, v77
	v_fmac_f32_e32 v9, 0x3f0a6770, v46
	v_add_f32_e32 v11, v11, v10
	v_add_f32_e32 v10, v20, v49
	;; [unrolled: 1-line block ×3, first 2 shown]
	v_mov_b32_e32 v12, v48
	v_mul_f32_e32 v49, 0xbf68dda4, v51
	v_fmac_f32_e32 v78, 0xbe11bafb, v59
	v_add_f32_e32 v8, v9, v8
	v_mov_b32_e32 v9, v66
	v_fmac_f32_e32 v12, 0x3f575c64, v33
	v_mov_b32_e32 v15, v49
	v_add_f32_e32 v4, v78, v4
	v_fmac_f32_e32 v9, 0x3f4178ce, v47
	v_mul_f32_e32 v78, 0x3e903f40, v51
	v_add_f32_e32 v12, v20, v12
	v_fmac_f32_e32 v15, 0x3ed4b147, v50
	v_mul_f32_e32 v51, 0xbf7d64f0, v54
	v_add_f32_e32 v9, v9, v8
	v_mov_b32_e32 v8, v67
	v_fmac_f32_e32 v52, 0xbf27a4f4, v50
	v_add_f32_e32 v12, v15, v12
	v_mov_b32_e32 v15, v51
	v_fmac_f32_e32 v8, 0xbe11bafb, v33
	v_mov_b32_e32 v79, v78
	v_add_f32_e32 v10, v52, v10
	v_fmac_f32_e32 v15, 0xbe11bafb, v53
	v_mul_f32_e32 v52, 0xbf4178ce, v57
	v_add_f32_e32 v8, v20, v8
	v_fmac_f32_e32 v79, 0xbf75a155, v50
	v_add_f32_e32 v12, v15, v12
	v_mov_b32_e32 v15, v52
	v_add_f32_e32 v8, v79, v8
	v_mul_f32_e32 v79, 0x3f68dda4, v54
	v_fmac_f32_e32 v15, 0xbf27a4f4, v56
	v_mul_f32_e32 v54, 0xbe903f40, v60
	v_add_f32_e32 v12, v15, v12
	v_mov_b32_e32 v15, v54
	v_fmac_f32_e32 v15, 0xbf75a155, v59
	v_add_f32_e32 v12, v15, v12
	v_add_f32_e32 v15, v19, v21
	v_add_f32_e32 v14, v14, v15
	v_add_f32_e32 v14, v26, v14
	v_add_f32_e32 v14, v28, v14
	v_add_f32_e32 v14, v30, v14
	v_add_f32_e32 v14, v32, v14
	v_add_f32_e32 v14, v34, v14
	v_add_f32_e32 v14, v36, v14
	v_fmac_f32_e32 v68, 0xbe903f40, v42
	v_add_f32_e32 v14, v16, v14
	v_add_f32_e32 v16, v21, v68
	v_fmac_f32_e32 v69, 0x3f0a6770, v44
	v_add_f32_e32 v16, v69, v16
	v_fmac_f32_e32 v70, 0xbf4178ce, v25
	v_add_f32_e32 v15, v18, v14
	v_add_f32_e32 v14, v20, v40
	;; [unrolled: 1-line block ×3, first 2 shown]
	v_fmac_f32_e32 v71, 0x3f68dda4, v46
	v_add_f32_e32 v14, v22, v14
	v_add_f32_e32 v16, v71, v16
	v_fmac_f32_e32 v72, 0xbf7d64f0, v47
	v_add_f32_e32 v14, v17, v14
	v_add_f32_e32 v17, v72, v16
	v_fma_f32 v16, v33, s16, -v73
	v_add_f32_e32 v16, v20, v16
	v_fma_f32 v18, v50, s6, -v74
	v_add_f32_e32 v16, v18, v16
	v_fma_f32 v18, v53, s15, -v75
	v_add_f32_e32 v16, v18, v16
	v_fma_f32 v18, v56, s7, -v76
	v_add_f32_e32 v16, v18, v16
	v_fma_f32 v18, v59, s14, -v77
	v_fmac_f32_e32 v62, 0xbf7d64f0, v42
	v_add_f32_e32 v16, v18, v16
	v_add_f32_e32 v18, v21, v62
	v_fmac_f32_e32 v63, 0x3e903f40, v44
	v_add_f32_e32 v18, v63, v18
	v_fmac_f32_e32 v64, 0x3f68dda4, v25
	v_mov_b32_e32 v80, v79
	v_add_f32_e32 v18, v64, v18
	v_fmac_f32_e32 v65, 0xbf0a6770, v46
	v_fmac_f32_e32 v80, 0x3ed4b147, v53
	v_add_f32_e32 v14, v37, v14
	v_add_f32_e32 v18, v65, v18
	v_fmac_f32_e32 v66, 0xbf4178ce, v47
	v_add_f32_e32 v8, v80, v8
	v_mul_f32_e32 v80, 0xbf0a6770, v57
	v_add_f32_e32 v14, v29, v14
	v_add_f32_e32 v19, v66, v18
	v_fma_f32 v18, v33, s14, -v67
	v_mov_b32_e32 v81, v80
	v_add_f32_e32 v14, v35, v14
	v_add_f32_e32 v18, v20, v18
	v_fma_f32 v22, v50, s16, -v78
	v_fmac_f32_e32 v81, 0x3f575c64, v56
	v_add_f32_e32 v14, v39, v14
	v_add_f32_e32 v18, v22, v18
	v_fma_f32 v22, v53, s7, -v79
	v_add_f32_e32 v8, v81, v8
	v_mul_f32_e32 v81, 0xbf4178ce, v60
	v_fmac_f32_e32 v55, 0xbf75a155, v53
	v_add_f32_e32 v14, v24, v14
	v_add_f32_e32 v18, v22, v18
	v_fma_f32 v22, v56, s6, -v80
	v_mov_b32_e32 v82, v81
	v_add_f32_e32 v10, v55, v10
	v_fmac_f32_e32 v58, 0xbe11bafb, v56
	v_add_f32_e32 v14, v23, v14
	v_add_f32_e32 v18, v22, v18
	v_fma_f32 v22, v59, s15, -v81
	v_fmac_f32_e32 v82, 0xbf27a4f4, v59
	v_add_f32_e32 v10, v58, v10
	v_fmac_f32_e32 v61, 0x3f575c64, v59
	v_add_f32_e32 v14, v41, v14
	v_add_f32_e32 v18, v22, v18
	v_fmac_f32_e32 v38, 0xbf0a6770, v42
	v_fma_f32 v22, v33, s6, -v48
	v_add_f32_e32 v8, v82, v8
	v_add_f32_e32 v10, v61, v10
	;; [unrolled: 1-line block ×3, first 2 shown]
	v_fmac_f32_e32 v43, 0xbf68dda4, v44
	v_add_f32_e32 v20, v20, v22
	v_fma_f32 v22, v50, s7, -v49
	ds_write2_b64 v169, v[14:15], v[12:13] offset0:44 offset1:128
	v_add_u32_e32 v12, 0x400, v169
	v_add_f32_e32 v21, v43, v21
	v_fmac_f32_e32 v27, 0xbf7d64f0, v25
	v_add_f32_e32 v20, v22, v20
	v_fma_f32 v22, v53, s14, -v51
	ds_write2_b64 v12, v[10:11], v[8:9] offset0:84 offset1:168
	v_add_u32_e32 v8, 0x800, v169
	v_add_f32_e32 v21, v27, v21
	;; [unrolled: 6-line block ×4, first 2 shown]
	v_add_f32_e32 v20, v22, v20
	ds_write2_b64 v2, v[18:19], v[0:1] offset0:76 offset1:160
	ds_write_b64 v169, v[20:21] offset:7072
.LBB0_29:
	s_or_b64 exec, exec, s[4:5]
	s_waitcnt lgkmcnt(0)
	; wave barrier
	s_waitcnt lgkmcnt(0)
	ds_read2_b64 v[0:3], v169 offset1:44
	v_mad_u64_u32 v[8:9], s[2:3], s10, v197, 0
	s_mov_b32 s2, 0x4046ed29
	s_mov_b32 s3, 0x3f51bb4a
	s_waitcnt lgkmcnt(0)
	v_mul_f32_e32 v4, v153, v1
	v_fmac_f32_e32 v4, v152, v0
	v_cvt_f64_f32_e32 v[4:5], v4
	v_mul_f32_e32 v0, v153, v0
	v_fma_f32 v0, v152, v1, -v0
	v_cvt_f64_f32_e32 v[0:1], v0
	v_mul_f64 v[4:5], v[4:5], s[2:3]
	v_mov_b32_e32 v6, v9
	v_mad_u64_u32 v[10:11], s[4:5], s8, v170, 0
	v_mad_u64_u32 v[6:7], s[4:5], s11, v197, v[6:7]
	v_mul_f64 v[0:1], v[0:1], s[2:3]
	v_add_u32_e32 v16, 0x800, v169
	v_cvt_f32_f64_e32 v12, v[4:5]
	v_mov_b32_e32 v4, v11
	v_mov_b32_e32 v9, v6
	v_mad_u64_u32 v[14:15], s[4:5], s9, v170, v[4:5]
	ds_read2_b64 v[4:7], v16 offset0:206 offset1:250
	v_cvt_f32_f64_e32 v13, v[0:1]
	v_lshlrev_b64 v[0:1], 3, v[8:9]
	v_mov_b32_e32 v11, v14
	v_mov_b32_e32 v14, s13
	s_waitcnt lgkmcnt(0)
	v_mul_f32_e32 v8, v147, v5
	v_fmac_f32_e32 v8, v146, v4
	v_mul_f32_e32 v4, v147, v4
	v_fma_f32 v4, v146, v5, -v4
	v_cvt_f64_f32_e32 v[8:9], v8
	v_cvt_f64_f32_e32 v[4:5], v4
	v_add_co_u32_e32 v15, vcc, s12, v0
	v_addc_co_u32_e32 v14, vcc, v14, v1, vcc
	v_mul_f64 v[0:1], v[8:9], s[2:3]
	v_mul_f64 v[4:5], v[4:5], s[2:3]
	v_lshlrev_b64 v[8:9], 3, v[10:11]
	s_mul_i32 s4, s9, 0x1ce
	s_mul_hi_u32 s5, s8, 0x1ce
	v_add_co_u32_e32 v8, vcc, v15, v8
	s_add_i32 s5, s5, s4
	v_cvt_f32_f64_e32 v0, v[0:1]
	v_cvt_f32_f64_e32 v1, v[4:5]
	v_mul_f32_e32 v4, v145, v3
	v_fmac_f32_e32 v4, v144, v2
	v_mul_f32_e32 v2, v145, v2
	v_fma_f32 v2, v144, v3, -v2
	v_cvt_f64_f32_e32 v[4:5], v4
	v_cvt_f64_f32_e32 v[2:3], v2
	s_mul_i32 s4, s8, 0x1ce
	v_addc_co_u32_e32 v9, vcc, v14, v9, vcc
	v_mul_f64 v[4:5], v[4:5], s[2:3]
	v_mul_f64 v[2:3], v[2:3], s[2:3]
	s_lshl_b64 s[4:5], s[4:5], 3
	global_store_dwordx2 v[8:9], v[12:13], off
	v_mov_b32_e32 v17, s5
	v_add_co_u32_e32 v8, vcc, s4, v8
	v_addc_co_u32_e32 v9, vcc, v9, v17, vcc
	global_store_dwordx2 v[8:9], v[0:1], off
	v_cvt_f32_f64_e32 v4, v[4:5]
	v_cvt_f32_f64_e32 v5, v[2:3]
	v_mul_f32_e32 v0, v149, v7
	v_mul_f32_e32 v2, v149, v6
	v_fmac_f32_e32 v0, v148, v6
	v_fma_f32 v2, v148, v7, -v2
	v_cvt_f64_f32_e32 v[0:1], v0
	v_cvt_f64_f32_e32 v[2:3], v2
	s_mul_hi_u32 s7, s8, 0xfffffe5e
	s_mul_i32 s6, s9, 0xfffffe5e
	s_sub_i32 s7, s7, s8
	v_mul_f64 v[6:7], v[0:1], s[2:3]
	v_mul_f64 v[10:11], v[2:3], s[2:3]
	ds_read2_b64 v[0:3], v169 offset0:88 offset1:132
	s_add_i32 s7, s7, s6
	s_mul_i32 s6, s8, 0xfffffe5e
	s_lshl_b64 s[6:7], s[6:7], 3
	v_mov_b32_e32 v18, s7
	v_add_co_u32_e32 v8, vcc, s6, v8
	v_addc_co_u32_e32 v9, vcc, v9, v18, vcc
	global_store_dwordx2 v[8:9], v[4:5], off
	s_waitcnt lgkmcnt(0)
	v_mul_f32_e32 v4, v141, v1
	v_fmac_f32_e32 v4, v140, v0
	v_mul_f32_e32 v0, v141, v0
	v_fma_f32 v0, v140, v1, -v0
	v_add_u32_e32 v14, 0x1000, v169
	v_cvt_f32_f64_e32 v12, v[6:7]
	v_cvt_f32_f64_e32 v13, v[10:11]
	v_cvt_f64_f32_e32 v[10:11], v4
	v_cvt_f64_f32_e32 v[0:1], v0
	ds_read2_b64 v[4:7], v14 offset0:38 offset1:82
	v_add_co_u32_e32 v8, vcc, s4, v8
	v_addc_co_u32_e32 v9, vcc, v9, v17, vcc
	v_mul_f64 v[10:11], v[10:11], s[2:3]
	v_mul_f64 v[0:1], v[0:1], s[2:3]
	global_store_dwordx2 v[8:9], v[12:13], off
	s_waitcnt lgkmcnt(0)
	v_mul_f32_e32 v12, v165, v5
	v_fmac_f32_e32 v12, v164, v4
	v_mul_f32_e32 v4, v165, v4
	v_fma_f32 v4, v164, v5, -v4
	v_cvt_f64_f32_e32 v[12:13], v12
	v_cvt_f64_f32_e32 v[4:5], v4
	v_cvt_f32_f64_e32 v10, v[10:11]
	v_cvt_f32_f64_e32 v11, v[0:1]
	v_mul_f64 v[0:1], v[12:13], s[2:3]
	v_mul_f64 v[4:5], v[4:5], s[2:3]
	v_add_co_u32_e32 v8, vcc, s6, v8
	v_addc_co_u32_e32 v9, vcc, v9, v18, vcc
	global_store_dwordx2 v[8:9], v[10:11], off
	v_add_co_u32_e32 v8, vcc, s4, v8
	v_cvt_f32_f64_e32 v0, v[0:1]
	v_cvt_f32_f64_e32 v1, v[4:5]
	v_mul_f32_e32 v4, v135, v3
	v_fmac_f32_e32 v4, v134, v2
	v_mul_f32_e32 v2, v135, v2
	v_cvt_f64_f32_e32 v[4:5], v4
	v_fma_f32 v2, v134, v3, -v2
	v_cvt_f64_f32_e32 v[2:3], v2
	v_addc_co_u32_e32 v9, vcc, v9, v17, vcc
	global_store_dwordx2 v[8:9], v[0:1], off
	v_mul_f64 v[0:1], v[4:5], s[2:3]
	v_mul_f32_e32 v4, v163, v7
	v_mul_f64 v[2:3], v[2:3], s[2:3]
	v_fmac_f32_e32 v4, v162, v6
	v_cvt_f64_f32_e32 v[4:5], v4
	v_mul_f32_e32 v6, v163, v6
	v_fma_f32 v6, v162, v7, -v6
	v_cvt_f64_f32_e32 v[6:7], v6
	v_mul_f64 v[4:5], v[4:5], s[2:3]
	v_cvt_f32_f64_e32 v10, v[0:1]
	v_cvt_f32_f64_e32 v11, v[2:3]
	v_mul_f64 v[6:7], v[6:7], s[2:3]
	ds_read2_b64 v[0:3], v169 offset0:176 offset1:220
	v_add_co_u32_e32 v8, vcc, s6, v8
	v_addc_co_u32_e32 v9, vcc, v9, v18, vcc
	global_store_dwordx2 v[8:9], v[10:11], off
	v_cvt_f32_f64_e32 v10, v[4:5]
	s_waitcnt lgkmcnt(0)
	v_mul_f32_e32 v4, v161, v1
	v_fmac_f32_e32 v4, v160, v0
	v_cvt_f32_f64_e32 v11, v[6:7]
	v_cvt_f64_f32_e32 v[12:13], v4
	ds_read2_b64 v[4:7], v14 offset0:126 offset1:170
	v_mul_f32_e32 v0, v161, v0
	v_fma_f32 v0, v160, v1, -v0
	v_cvt_f64_f32_e32 v[0:1], v0
	v_mul_f64 v[12:13], v[12:13], s[2:3]
	s_waitcnt lgkmcnt(0)
	v_mul_f32_e32 v14, v159, v5
	v_fmac_f32_e32 v14, v158, v4
	v_mul_f32_e32 v4, v159, v4
	v_fma_f32 v4, v158, v5, -v4
	v_cvt_f64_f32_e32 v[4:5], v4
	v_mul_f64 v[0:1], v[0:1], s[2:3]
	v_add_co_u32_e32 v8, vcc, s4, v8
	v_mul_f64 v[4:5], v[4:5], s[2:3]
	v_addc_co_u32_e32 v9, vcc, v9, v17, vcc
	v_cvt_f64_f32_e32 v[14:15], v14
	global_store_dwordx2 v[8:9], v[10:11], off
	v_cvt_f32_f64_e32 v11, v[0:1]
	v_add_co_u32_e32 v0, vcc, s6, v8
	v_addc_co_u32_e32 v1, vcc, v9, v18, vcc
	v_cvt_f32_f64_e32 v9, v[4:5]
	v_mul_f32_e32 v4, v157, v3
	v_cvt_f32_f64_e32 v10, v[12:13]
	v_fmac_f32_e32 v4, v156, v2
	v_mul_f32_e32 v2, v157, v2
	v_cvt_f64_f32_e32 v[4:5], v4
	v_fma_f32 v2, v156, v3, -v2
	v_mul_f64 v[12:13], v[14:15], s[2:3]
	v_cvt_f64_f32_e32 v[2:3], v2
	global_store_dwordx2 v[0:1], v[10:11], off
	v_add_co_u32_e32 v10, vcc, s4, v0
	v_addc_co_u32_e32 v11, vcc, v1, v17, vcc
	v_mul_f64 v[0:1], v[4:5], s[2:3]
	v_mul_f32_e32 v4, v155, v7
	v_mul_f64 v[2:3], v[2:3], s[2:3]
	v_fmac_f32_e32 v4, v154, v6
	v_cvt_f64_f32_e32 v[4:5], v4
	v_mul_f32_e32 v6, v155, v6
	v_fma_f32 v6, v154, v7, -v6
	v_cvt_f32_f64_e32 v8, v[12:13]
	v_cvt_f64_f32_e32 v[6:7], v6
	v_mul_f64 v[4:5], v[4:5], s[2:3]
	s_movk_i32 s8, 0x1000
	global_store_dwordx2 v[10:11], v[8:9], off
	v_cvt_f32_f64_e32 v8, v[0:1]
	v_cvt_f32_f64_e32 v9, v[2:3]
	v_mul_f64 v[6:7], v[6:7], s[2:3]
	ds_read2_b64 v[0:3], v16 offset0:8 offset1:52
	v_add_co_u32_e32 v10, vcc, s6, v10
	v_addc_co_u32_e32 v11, vcc, v11, v18, vcc
	global_store_dwordx2 v[10:11], v[8:9], off
	v_cvt_f32_f64_e32 v8, v[4:5]
	s_waitcnt lgkmcnt(0)
	v_mul_f32_e32 v4, v151, v1
	v_fmac_f32_e32 v4, v150, v0
	v_cvt_f64_f32_e32 v[12:13], v4
	v_add_u32_e32 v4, 0x1400, v169
	v_cvt_f32_f64_e32 v9, v[6:7]
	ds_read2_b64 v[4:7], v4 offset0:86 offset1:130
	v_mul_f32_e32 v0, v151, v0
	v_fma_f32 v0, v150, v1, -v0
	v_cvt_f64_f32_e32 v[0:1], v0
	v_mul_f64 v[12:13], v[12:13], s[2:3]
	s_waitcnt lgkmcnt(0)
	v_mul_f32_e32 v14, v143, v5
	v_fmac_f32_e32 v14, v142, v4
	v_mul_f32_e32 v4, v143, v4
	v_fma_f32 v4, v142, v5, -v4
	v_mul_f64 v[0:1], v[0:1], s[2:3]
	v_cvt_f64_f32_e32 v[4:5], v4
	v_add_co_u32_e32 v10, vcc, s4, v10
	v_addc_co_u32_e32 v11, vcc, v11, v17, vcc
	v_mul_f64 v[4:5], v[4:5], s[2:3]
	global_store_dwordx2 v[10:11], v[8:9], off
	v_cvt_f32_f64_e32 v8, v[12:13]
	v_cvt_f32_f64_e32 v9, v[0:1]
	v_add_co_u32_e32 v0, vcc, s6, v10
	v_cvt_f64_f32_e32 v[14:15], v14
	v_addc_co_u32_e32 v1, vcc, v11, v18, vcc
	global_store_dwordx2 v[0:1], v[8:9], off
	v_cvt_f32_f64_e32 v9, v[4:5]
	v_mul_f32_e32 v4, v139, v3
	v_fmac_f32_e32 v4, v138, v2
	v_mul_f32_e32 v2, v139, v2
	v_cvt_f64_f32_e32 v[4:5], v4
	v_fma_f32 v2, v138, v3, -v2
	v_mul_f64 v[12:13], v[14:15], s[2:3]
	v_cvt_f64_f32_e32 v[2:3], v2
	v_add_co_u32_e32 v10, vcc, s4, v0
	v_addc_co_u32_e32 v11, vcc, v1, v17, vcc
	v_mul_f64 v[0:1], v[4:5], s[2:3]
	v_mul_f32_e32 v4, v137, v7
	v_mul_f64 v[2:3], v[2:3], s[2:3]
	v_fmac_f32_e32 v4, v136, v6
	v_cvt_f64_f32_e32 v[4:5], v4
	v_mul_f32_e32 v6, v137, v6
	v_fma_f32 v6, v136, v7, -v6
	v_cvt_f32_f64_e32 v8, v[12:13]
	v_cvt_f64_f32_e32 v[6:7], v6
	v_mul_f64 v[4:5], v[4:5], s[2:3]
	global_store_dwordx2 v[10:11], v[8:9], off
	v_cvt_f32_f64_e32 v8, v[0:1]
	v_cvt_f32_f64_e32 v9, v[2:3]
	v_mul_f64 v[6:7], v[6:7], s[2:3]
	ds_read2_b64 v[0:3], v16 offset0:96 offset1:140
	v_add_co_u32_e32 v10, vcc, s6, v10
	v_addc_co_u32_e32 v11, vcc, v11, v18, vcc
	global_store_dwordx2 v[10:11], v[8:9], off
	v_cvt_f32_f64_e32 v8, v[4:5]
	s_waitcnt lgkmcnt(0)
	v_mul_f32_e32 v4, v129, v1
	v_fmac_f32_e32 v4, v128, v0
	v_cvt_f64_f32_e32 v[12:13], v4
	v_add_u32_e32 v4, 0x1800, v169
	v_cvt_f32_f64_e32 v9, v[6:7]
	ds_read2_b64 v[4:7], v4 offset0:46 offset1:90
	v_mul_f32_e32 v0, v129, v0
	v_fma_f32 v0, v128, v1, -v0
	v_cvt_f64_f32_e32 v[0:1], v0
	v_mul_f64 v[12:13], v[12:13], s[2:3]
	s_waitcnt lgkmcnt(0)
	v_mul_f32_e32 v14, v133, v5
	v_fmac_f32_e32 v14, v132, v4
	v_mul_f32_e32 v4, v133, v4
	v_fma_f32 v4, v132, v5, -v4
	v_mul_f64 v[0:1], v[0:1], s[2:3]
	v_cvt_f64_f32_e32 v[4:5], v4
	v_cvt_f64_f32_e32 v[14:15], v14
	v_add_co_u32_e32 v10, vcc, s4, v10
	v_mul_f64 v[4:5], v[4:5], s[2:3]
	v_addc_co_u32_e32 v11, vcc, v11, v17, vcc
	global_store_dwordx2 v[10:11], v[8:9], off
	v_cvt_f32_f64_e32 v8, v[12:13]
	v_cvt_f32_f64_e32 v9, v[0:1]
	v_mul_f64 v[12:13], v[14:15], s[2:3]
	v_add_co_u32_e32 v0, vcc, s6, v10
	v_addc_co_u32_e32 v1, vcc, v11, v18, vcc
	global_store_dwordx2 v[0:1], v[8:9], off
	v_cvt_f32_f64_e32 v9, v[4:5]
	v_mul_f32_e32 v4, v127, v3
	v_fmac_f32_e32 v4, v126, v2
	v_mul_f32_e32 v2, v127, v2
	v_fma_f32 v2, v126, v3, -v2
	v_mul_f32_e32 v10, v131, v7
	v_cvt_f64_f32_e32 v[4:5], v4
	v_cvt_f64_f32_e32 v[2:3], v2
	v_fmac_f32_e32 v10, v130, v6
	v_mul_f32_e32 v6, v131, v6
	v_fma_f32 v6, v130, v7, -v6
	v_cvt_f32_f64_e32 v8, v[12:13]
	v_cvt_f64_f32_e32 v[10:11], v10
	v_cvt_f64_f32_e32 v[6:7], v6
	v_add_co_u32_e32 v0, vcc, s4, v0
	v_mul_f64 v[4:5], v[4:5], s[2:3]
	v_mul_f64 v[2:3], v[2:3], s[2:3]
	v_addc_co_u32_e32 v1, vcc, v1, v17, vcc
	global_store_dwordx2 v[0:1], v[8:9], off
	v_mul_f64 v[8:9], v[10:11], s[2:3]
	v_mul_f64 v[6:7], v[6:7], s[2:3]
	v_add_co_u32_e32 v0, vcc, s6, v0
	v_cvt_f32_f64_e32 v4, v[4:5]
	v_cvt_f32_f64_e32 v5, v[2:3]
	v_addc_co_u32_e32 v1, vcc, v1, v18, vcc
	v_cvt_f32_f64_e32 v2, v[8:9]
	v_cvt_f32_f64_e32 v3, v[6:7]
	global_store_dwordx2 v[0:1], v[4:5], off
	v_add_co_u32_e32 v0, vcc, s4, v0
	v_addc_co_u32_e32 v1, vcc, v1, v17, vcc
	global_store_dwordx2 v[0:1], v[2:3], off
	s_and_b64 exec, exec, s[0:1]
	s_cbranch_execz .LBB0_31
; %bb.30:
	global_load_dwordx2 v[2:3], v[124:125], off offset:3520
	ds_read_b64 v[4:5], v169 offset:3520
	ds_read_b64 v[6:7], v169 offset:7216
	v_mov_b32_e32 v10, s7
	s_waitcnt vmcnt(0) lgkmcnt(1)
	v_mul_f32_e32 v8, v5, v3
	v_mul_f32_e32 v3, v4, v3
	v_fmac_f32_e32 v8, v4, v2
	v_fma_f32 v4, v2, v5, -v3
	v_cvt_f64_f32_e32 v[2:3], v8
	v_cvt_f64_f32_e32 v[4:5], v4
	v_add_co_u32_e32 v8, vcc, s8, v124
	v_mul_f64 v[2:3], v[2:3], s[2:3]
	v_mul_f64 v[4:5], v[4:5], s[2:3]
	v_addc_co_u32_e32 v9, vcc, 0, v125, vcc
	v_add_co_u32_e32 v0, vcc, s6, v0
	v_addc_co_u32_e32 v1, vcc, v1, v10, vcc
	v_cvt_f32_f64_e32 v2, v[2:3]
	v_cvt_f32_f64_e32 v3, v[4:5]
	global_store_dwordx2 v[0:1], v[2:3], off
	global_load_dwordx2 v[2:3], v[8:9], off offset:3120
	v_add_co_u32_e32 v0, vcc, s4, v0
	s_waitcnt vmcnt(0) lgkmcnt(0)
	v_mul_f32_e32 v4, v7, v3
	v_mul_f32_e32 v3, v6, v3
	v_fmac_f32_e32 v4, v6, v2
	v_fma_f32 v5, v2, v7, -v3
	v_cvt_f64_f32_e32 v[2:3], v4
	v_cvt_f64_f32_e32 v[4:5], v5
	v_mov_b32_e32 v6, s5
	v_addc_co_u32_e32 v1, vcc, v1, v6, vcc
	v_mul_f64 v[2:3], v[2:3], s[2:3]
	v_mul_f64 v[4:5], v[4:5], s[2:3]
	v_cvt_f32_f64_e32 v2, v[2:3]
	v_cvt_f32_f64_e32 v3, v[4:5]
	global_store_dwordx2 v[0:1], v[2:3], off
.LBB0_31:
	s_endpgm
	.section	.rodata,"a",@progbits
	.p2align	6, 0x0
	.amdhsa_kernel bluestein_single_fwd_len924_dim1_sp_op_CI_CI
		.amdhsa_group_segment_fixed_size 7392
		.amdhsa_private_segment_fixed_size 48
		.amdhsa_kernarg_size 104
		.amdhsa_user_sgpr_count 6
		.amdhsa_user_sgpr_private_segment_buffer 1
		.amdhsa_user_sgpr_dispatch_ptr 0
		.amdhsa_user_sgpr_queue_ptr 0
		.amdhsa_user_sgpr_kernarg_segment_ptr 1
		.amdhsa_user_sgpr_dispatch_id 0
		.amdhsa_user_sgpr_flat_scratch_init 0
		.amdhsa_user_sgpr_private_segment_size 0
		.amdhsa_uses_dynamic_stack 0
		.amdhsa_system_sgpr_private_segment_wavefront_offset 1
		.amdhsa_system_sgpr_workgroup_id_x 1
		.amdhsa_system_sgpr_workgroup_id_y 0
		.amdhsa_system_sgpr_workgroup_id_z 0
		.amdhsa_system_sgpr_workgroup_info 0
		.amdhsa_system_vgpr_workitem_id 0
		.amdhsa_next_free_vgpr 256
		.amdhsa_next_free_sgpr 24
		.amdhsa_reserve_vcc 1
		.amdhsa_reserve_flat_scratch 0
		.amdhsa_float_round_mode_32 0
		.amdhsa_float_round_mode_16_64 0
		.amdhsa_float_denorm_mode_32 3
		.amdhsa_float_denorm_mode_16_64 3
		.amdhsa_dx10_clamp 1
		.amdhsa_ieee_mode 1
		.amdhsa_fp16_overflow 0
		.amdhsa_exception_fp_ieee_invalid_op 0
		.amdhsa_exception_fp_denorm_src 0
		.amdhsa_exception_fp_ieee_div_zero 0
		.amdhsa_exception_fp_ieee_overflow 0
		.amdhsa_exception_fp_ieee_underflow 0
		.amdhsa_exception_fp_ieee_inexact 0
		.amdhsa_exception_int_div_zero 0
	.end_amdhsa_kernel
	.text
.Lfunc_end0:
	.size	bluestein_single_fwd_len924_dim1_sp_op_CI_CI, .Lfunc_end0-bluestein_single_fwd_len924_dim1_sp_op_CI_CI
                                        ; -- End function
	.section	.AMDGPU.csdata,"",@progbits
; Kernel info:
; codeLenInByte = 23496
; NumSgprs: 28
; NumVgprs: 256
; ScratchSize: 48
; MemoryBound: 0
; FloatMode: 240
; IeeeMode: 1
; LDSByteSize: 7392 bytes/workgroup (compile time only)
; SGPRBlocks: 3
; VGPRBlocks: 63
; NumSGPRsForWavesPerEU: 28
; NumVGPRsForWavesPerEU: 256
; Occupancy: 1
; WaveLimiterHint : 1
; COMPUTE_PGM_RSRC2:SCRATCH_EN: 1
; COMPUTE_PGM_RSRC2:USER_SGPR: 6
; COMPUTE_PGM_RSRC2:TRAP_HANDLER: 0
; COMPUTE_PGM_RSRC2:TGID_X_EN: 1
; COMPUTE_PGM_RSRC2:TGID_Y_EN: 0
; COMPUTE_PGM_RSRC2:TGID_Z_EN: 0
; COMPUTE_PGM_RSRC2:TIDIG_COMP_CNT: 0
	.type	__hip_cuid_7b96cfb66beb34e2,@object ; @__hip_cuid_7b96cfb66beb34e2
	.section	.bss,"aw",@nobits
	.globl	__hip_cuid_7b96cfb66beb34e2
__hip_cuid_7b96cfb66beb34e2:
	.byte	0                               ; 0x0
	.size	__hip_cuid_7b96cfb66beb34e2, 1

	.ident	"AMD clang version 19.0.0git (https://github.com/RadeonOpenCompute/llvm-project roc-6.4.0 25133 c7fe45cf4b819c5991fe208aaa96edf142730f1d)"
	.section	".note.GNU-stack","",@progbits
	.addrsig
	.addrsig_sym __hip_cuid_7b96cfb66beb34e2
	.amdgpu_metadata
---
amdhsa.kernels:
  - .args:
      - .actual_access:  read_only
        .address_space:  global
        .offset:         0
        .size:           8
        .value_kind:     global_buffer
      - .actual_access:  read_only
        .address_space:  global
        .offset:         8
        .size:           8
        .value_kind:     global_buffer
      - .actual_access:  read_only
        .address_space:  global
        .offset:         16
        .size:           8
        .value_kind:     global_buffer
      - .actual_access:  read_only
        .address_space:  global
        .offset:         24
        .size:           8
        .value_kind:     global_buffer
      - .actual_access:  read_only
        .address_space:  global
        .offset:         32
        .size:           8
        .value_kind:     global_buffer
      - .offset:         40
        .size:           8
        .value_kind:     by_value
      - .address_space:  global
        .offset:         48
        .size:           8
        .value_kind:     global_buffer
      - .address_space:  global
        .offset:         56
        .size:           8
        .value_kind:     global_buffer
      - .address_space:  global
        .offset:         64
        .size:           8
        .value_kind:     global_buffer
      - .address_space:  global
        .offset:         72
        .size:           8
        .value_kind:     global_buffer
      - .offset:         80
        .size:           4
        .value_kind:     by_value
      - .address_space:  global
        .offset:         88
        .size:           8
        .value_kind:     global_buffer
      - .address_space:  global
        .offset:         96
        .size:           8
        .value_kind:     global_buffer
    .group_segment_fixed_size: 7392
    .kernarg_segment_align: 8
    .kernarg_segment_size: 104
    .language:       OpenCL C
    .language_version:
      - 2
      - 0
    .max_flat_workgroup_size: 44
    .name:           bluestein_single_fwd_len924_dim1_sp_op_CI_CI
    .private_segment_fixed_size: 48
    .sgpr_count:     28
    .sgpr_spill_count: 0
    .symbol:         bluestein_single_fwd_len924_dim1_sp_op_CI_CI.kd
    .uniform_work_group_size: 1
    .uses_dynamic_stack: false
    .vgpr_count:     256
    .vgpr_spill_count: 11
    .wavefront_size: 64
amdhsa.target:   amdgcn-amd-amdhsa--gfx906
amdhsa.version:
  - 1
  - 2
...

	.end_amdgpu_metadata
